;; amdgpu-corpus repo=ROCm/rocFFT kind=compiled arch=gfx1201 opt=O3
	.text
	.amdgcn_target "amdgcn-amd-amdhsa--gfx1201"
	.amdhsa_code_object_version 6
	.protected	bluestein_single_fwd_len357_dim1_half_op_CI_CI ; -- Begin function bluestein_single_fwd_len357_dim1_half_op_CI_CI
	.globl	bluestein_single_fwd_len357_dim1_half_op_CI_CI
	.p2align	8
	.type	bluestein_single_fwd_len357_dim1_half_op_CI_CI,@function
bluestein_single_fwd_len357_dim1_half_op_CI_CI: ; @bluestein_single_fwd_len357_dim1_half_op_CI_CI
; %bb.0:
	s_load_b128 s[12:15], s[0:1], 0x28
	v_mul_u32_u24_e32 v1, 0xf10, v0
	s_mov_b32 s2, exec_lo
	s_delay_alu instid0(VALU_DEP_1) | instskip(NEXT) | instid1(VALU_DEP_1)
	v_lshrrev_b32_e32 v1, 16, v1
	v_mad_co_u64_u32 v[14:15], null, ttmp9, 11, v[1:2]
	v_mov_b32_e32 v15, 0
	s_wait_kmcnt 0x0
	s_delay_alu instid0(VALU_DEP_1)
	v_cmpx_gt_u64_e64 s[12:13], v[14:15]
	s_cbranch_execz .LBB0_15
; %bb.1:
	s_clause 0x1
	s_load_b128 s[4:7], s[0:1], 0x18
	s_load_b64 s[12:13], s[0:1], 0x0
	v_mul_lo_u16 v1, v1, 17
	s_delay_alu instid0(VALU_DEP_1) | instskip(NEXT) | instid1(VALU_DEP_1)
	v_sub_nc_u16 v7, v0, v1
	v_and_b32_e32 v96, 0xffff, v7
	s_wait_kmcnt 0x0
	s_load_b128 s[8:11], s[4:5], 0x0
	s_wait_kmcnt 0x0
	v_mad_co_u64_u32 v[0:1], null, s10, v14, 0
	v_mad_co_u64_u32 v[2:3], null, s8, v96, 0
	s_mul_u64 s[2:3], s[8:9], 21
	s_delay_alu instid0(VALU_DEP_1) | instskip(NEXT) | instid1(VALU_DEP_2)
	v_mad_co_u64_u32 v[4:5], null, s11, v14, v[1:2]
	v_mov_b32_e32 v1, v3
	v_lshlrev_b32_e32 v49, 2, v96
	s_clause 0x7
	global_load_b32 v101, v49, s[12:13]
	global_load_b32 v100, v49, s[12:13] offset:84
	global_load_b32 v98, v49, s[12:13] offset:168
	;; [unrolled: 1-line block ×7, first 2 shown]
	v_mad_co_u64_u32 v[5:6], null, s9, v96, v[1:2]
	v_mov_b32_e32 v1, v4
	s_clause 0x8
	global_load_b32 v41, v49, s[12:13] offset:672
	global_load_b32 v39, v49, s[12:13] offset:756
	;; [unrolled: 1-line block ×9, first 2 shown]
	s_load_b64 s[10:11], s[0:1], 0x38
	v_or_b32_e32 v97, 0x50, v96
	v_or_b32_e32 v85, 0xa4, v96
	v_lshlrev_b64_e32 v[0:1], 2, v[0:1]
	v_mov_b32_e32 v3, v5
	v_or_b32_e32 v83, 0xf8, v96
	v_or_b32_e32 v81, 0x14c, v96
	s_delay_alu instid0(VALU_DEP_3) | instskip(SKIP_3) | instid1(VALU_DEP_2)
	v_lshlrev_b64_e32 v[2:3], 2, v[2:3]
	v_add_co_u32 v4, vcc_lo, s14, v0
	v_add_co_ci_u32_e32 v5, vcc_lo, s15, v1, vcc_lo
	s_lshl_b64 s[14:15], s[2:3], 2
	v_add_co_u32 v0, vcc_lo, v4, v2
	s_wait_alu 0xfffd
	s_delay_alu instid0(VALU_DEP_2)
	v_add_co_ci_u32_e32 v1, vcc_lo, v5, v3, vcc_lo
	v_add_co_u32 v12, s2, s12, v49
	s_wait_alu 0xfffe
	v_add_co_u32 v2, vcc_lo, v0, s14
	s_wait_alu 0xfffd
	v_add_co_ci_u32_e32 v3, vcc_lo, s15, v1, vcc_lo
	global_load_b32 v6, v[0:1], off
	v_add_co_ci_u32_e64 v13, null, s13, 0, s2
	global_load_b32 v8, v[2:3], off
	v_add_co_u32 v0, vcc_lo, v2, s14
	s_wait_alu 0xfffd
	v_add_co_ci_u32_e32 v1, vcc_lo, s15, v3, vcc_lo
	s_delay_alu instid0(VALU_DEP_2) | instskip(SKIP_1) | instid1(VALU_DEP_2)
	v_add_co_u32 v2, vcc_lo, v0, s14
	s_wait_alu 0xfffd
	v_add_co_ci_u32_e32 v3, vcc_lo, s15, v1, vcc_lo
	s_clause 0x1
	global_load_b32 v9, v[0:1], off
	global_load_b32 v10, v[2:3], off
	v_add_co_u32 v0, vcc_lo, v2, s14
	s_wait_alu 0xfffd
	v_add_co_ci_u32_e32 v1, vcc_lo, s15, v3, vcc_lo
	s_delay_alu instid0(VALU_DEP_2) | instskip(SKIP_1) | instid1(VALU_DEP_2)
	v_add_co_u32 v2, vcc_lo, v0, s14
	s_wait_alu 0xfffd
	v_add_co_ci_u32_e32 v3, vcc_lo, s15, v1, vcc_lo
	global_load_b32 v11, v[0:1], off
	global_load_b32 v15, v[2:3], off
	v_add_co_u32 v0, vcc_lo, v2, s14
	s_wait_alu 0xfffd
	v_add_co_ci_u32_e32 v1, vcc_lo, s15, v3, vcc_lo
	s_delay_alu instid0(VALU_DEP_2) | instskip(SKIP_1) | instid1(VALU_DEP_2)
	v_add_co_u32 v2, vcc_lo, v0, s14
	s_wait_alu 0xfffd
	v_add_co_ci_u32_e32 v3, vcc_lo, s15, v1, vcc_lo
	global_load_b32 v16, v[0:1], off
	v_add_co_u32 v0, vcc_lo, v2, s14
	s_wait_alu 0xfffd
	v_add_co_ci_u32_e32 v1, vcc_lo, s15, v3, vcc_lo
	global_load_b32 v17, v[2:3], off
	global_load_b32 v18, v[0:1], off
	v_add_co_u32 v0, vcc_lo, v0, s14
	s_wait_alu 0xfffd
	v_add_co_ci_u32_e32 v1, vcc_lo, s15, v1, vcc_lo
	s_delay_alu instid0(VALU_DEP_2) | instskip(SKIP_1) | instid1(VALU_DEP_2)
	v_add_co_u32 v2, vcc_lo, v0, s14
	s_wait_alu 0xfffd
	v_add_co_ci_u32_e32 v3, vcc_lo, s15, v1, vcc_lo
	global_load_b32 v19, v[0:1], off
	;; [unrolled: 13-line block ×3, first 2 shown]
	v_add_co_u32 v0, vcc_lo, v2, s14
	s_wait_alu 0xfffd
	v_add_co_ci_u32_e32 v1, vcc_lo, s15, v3, vcc_lo
	global_load_b32 v23, v[2:3], off
	v_add_co_u32 v2, vcc_lo, v0, s14
	s_wait_alu 0xfffd
	v_add_co_ci_u32_e32 v3, vcc_lo, s15, v1, vcc_lo
	global_load_b32 v24, v[0:1], off
	;; [unrolled: 4-line block ×3, first 2 shown]
	global_load_b32 v26, v[0:1], off
	v_mul_hi_u32 v2, 0xba2e8ba3, v14
	v_cmp_gt_u16_e32 vcc_lo, 4, v7
	s_load_b128 s[4:7], s[6:7], 0x0
	s_delay_alu instid0(VALU_DEP_2) | instskip(NEXT) | instid1(VALU_DEP_1)
	v_lshrrev_b32_e32 v2, 3, v2
	v_mul_lo_u32 v2, v2, 11
	s_delay_alu instid0(VALU_DEP_1) | instskip(NEXT) | instid1(VALU_DEP_1)
	v_sub_nc_u32_e32 v2, v14, v2
	v_mul_u32_u24_e32 v45, 0x165, v2
	s_delay_alu instid0(VALU_DEP_1) | instskip(NEXT) | instid1(VALU_DEP_1)
	v_lshlrev_b32_e32 v70, 2, v45
	v_add_nc_u32_e32 v65, v49, v70
	s_delay_alu instid0(VALU_DEP_1)
	v_add_nc_u32_e32 v2, 0x200, v65
	v_add_nc_u32_e32 v3, 0x400, v65
	s_wait_loadcnt 0x21
	v_lshrrev_b32_e32 v28, 16, v101
	s_wait_loadcnt 0x20
	v_lshrrev_b32_e32 v52, 16, v100
	;; [unrolled: 2-line block ×17, first 2 shown]
	s_clause 0xd
	scratch_store_b32 off, v44, off offset:48
	scratch_store_b32 off, v41, off offset:36
	;; [unrolled: 1-line block ×13, first 2 shown]
	scratch_store_b32 off, v32, off
	s_wait_loadcnt 0x10
	v_lshrrev_b32_e32 v7, 16, v6
	v_mul_f16_e32 v27, v28, v6
	s_wait_loadcnt 0xf
	v_lshrrev_b32_e32 v29, 16, v8
	v_mul_f16_e32 v30, v52, v8
	v_mul_f16_e32 v28, v28, v7
	v_fma_f16 v7, v101, v7, -v27
	s_delay_alu instid0(VALU_DEP_2)
	v_fmac_f16_e32 v28, v101, v6
	v_mul_f16_e32 v6, v52, v29
	v_fma_f16 v29, v100, v29, -v30
	s_wait_loadcnt 0xe
	v_lshrrev_b32_e32 v27, 16, v9
	v_mul_f16_e32 v30, v31, v9
	v_pack_b32_f16 v7, v28, v7
	v_fmac_f16_e32 v6, v100, v8
	s_wait_loadcnt 0xd
	v_lshrrev_b32_e32 v28, 16, v10
	v_mul_f16_e32 v8, v31, v27
	v_mul_f16_e32 v31, v51, v10
	v_fma_f16 v27, v98, v27, -v30
	v_pack_b32_f16 v6, v6, v29
	s_delay_alu instid0(VALU_DEP_4)
	v_fmac_f16_e32 v8, v98, v9
	v_mul_f16_e32 v9, v51, v28
	s_wait_loadcnt 0xc
	v_lshrrev_b32_e32 v29, 16, v11
	v_fma_f16 v28, v95, v28, -v31
	v_mul_f16_e32 v30, v50, v11
	ds_store_2addr_b32 v65, v7, v6 offset1:21
	v_pack_b32_f16 v6, v8, v27
	v_fmac_f16_e32 v9, v95, v10
	v_mul_f16_e32 v7, v50, v29
	s_wait_loadcnt 0xb
	v_lshrrev_b32_e32 v8, 16, v15
	v_mul_f16_e32 v10, v48, v15
	v_fma_f16 v27, v93, v29, -v30
	v_pack_b32_f16 v9, v9, v28
	v_fmac_f16_e32 v7, v93, v11
	v_mul_f16_e32 v11, v48, v8
	v_fma_f16 v8, v91, v8, -v10
	s_wait_loadcnt 0xa
	v_lshrrev_b32_e32 v10, 16, v16
	v_mul_f16_e32 v28, v47, v16
	ds_store_2addr_b32 v65, v6, v9 offset0:42 offset1:63
	v_pack_b32_f16 v6, v7, v27
	v_fmac_f16_e32 v11, v91, v15
	v_mul_f16_e32 v7, v47, v10
	s_wait_loadcnt 0x9
	v_lshrrev_b32_e32 v9, 16, v17
	v_mul_f16_e32 v15, v46, v17
	v_fma_f16 v10, v89, v10, -v28
	v_pack_b32_f16 v8, v11, v8
	v_fmac_f16_e32 v7, v89, v16
	v_mul_f16_e32 v11, v46, v9
	v_fma_f16 v9, v43, v9, -v15
	s_wait_loadcnt 0x8
	v_lshrrev_b32_e32 v15, 16, v18
	v_mul_f16_e32 v16, v44, v18
	ds_store_2addr_b32 v65, v6, v8 offset0:84 offset1:105
	;; [unrolled: 15-line block ×4, first 2 shown]
	v_pack_b32_f16 v6, v7, v10
	v_fmac_f16_e32 v11, v35, v21
	s_wait_loadcnt 0x3
	v_lshrrev_b32_e32 v7, 16, v23
	v_mul_f16_e32 v8, v36, v15
	v_fma_f16 v10, v34, v15, -v16
	v_mul_f16_e32 v15, v33, v23
	v_pack_b32_f16 v9, v11, v9
	v_mul_f16_e32 v11, v33, v7
	s_wait_loadcnt 0x2
	v_lshrrev_b32_e32 v16, 16, v24
	s_wait_loadcnt 0x1
	v_lshrrev_b32_e32 v17, 16, v25
	v_fma_f16 v7, v32, v7, -v15
	v_mul_f16_e32 v15, v87, v24
	s_wait_loadcnt 0x0
	v_lshrrev_b32_e32 v19, 16, v26
	v_mul_f16_e32 v18, v87, v16
	v_mul_f16_e32 v20, v104, v17
	v_fmac_f16_e32 v8, v34, v22
	v_fma_f16 v15, v105, v16, -v15
	v_mul_f16_e32 v16, v104, v25
	v_mul_f16_e32 v21, v103, v26
	;; [unrolled: 1-line block ×3, first 2 shown]
	v_fmac_f16_e32 v11, v32, v23
	v_fmac_f16_e32 v18, v105, v24
	v_fma_f16 v16, v102, v17, -v16
	v_fmac_f16_e32 v20, v102, v25
	v_fma_f16 v17, v99, v19, -v21
	v_fmac_f16_e32 v22, v99, v26
	v_pack_b32_f16 v8, v8, v10
	v_pack_b32_f16 v7, v11, v7
	;; [unrolled: 1-line block ×5, first 2 shown]
	ds_store_2addr_b32 v65, v6, v9 offset0:210 offset1:231
	ds_store_2addr_b32 v2, v8, v7 offset0:124 offset1:145
	;; [unrolled: 1-line block ×3, first 2 shown]
	ds_store_b32 v65, v15 offset:1344
	s_and_saveexec_b32 s3, vcc_lo
	s_cbranch_execz .LBB0_3
; %bb.2:
	v_mad_co_u64_u32 v[6:7], null, s8, v97, 0
	v_mad_co_u64_u32 v[0:1], null, 0xfffffb04, s8, v[0:1]
	;; [unrolled: 1-line block ×3, first 2 shown]
	s_mul_i32 s2, s9, 0xfffffb04
	s_mul_u64 s[16:17], s[8:9], 0xa8
	s_wait_alu 0xfffe
	s_sub_co_i32 s2, s2, s8
	s_wait_alu 0xfffe
	s_delay_alu instid0(VALU_DEP_2) | instskip(SKIP_3) | instid1(VALU_DEP_3)
	v_add_nc_u32_e32 v1, s2, v1
	v_add_co_u32 v15, s2, v0, s14
	v_mad_co_u64_u32 v[10:11], null, s9, v97, v[7:8]
	s_wait_alu 0xf1ff
	v_add_co_ci_u32_e64 v16, s2, s15, v1, s2
	s_delay_alu instid0(VALU_DEP_3) | instskip(SKIP_1) | instid1(VALU_DEP_2)
	v_add_co_u32 v17, s2, v15, s14
	s_wait_alu 0xf1ff
	v_add_co_ci_u32_e64 v18, s2, s15, v16, s2
	s_delay_alu instid0(VALU_DEP_4)
	v_mov_b32_e32 v7, v10
	global_load_b32 v21, v[0:1], off
	global_load_b32 v22, v[15:16], off
	;; [unrolled: 1-line block ×3, first 2 shown]
	v_mad_co_u64_u32 v[9:10], null, s9, v85, v[9:10]
	v_add_co_u32 v10, s2, v17, s16
	v_lshlrev_b64_e32 v[0:1], 2, v[6:7]
	v_mad_co_u64_u32 v[6:7], null, s8, v83, 0
	s_wait_alu 0xf1ff
	v_add_co_ci_u32_e64 v11, s2, s17, v18, s2
	v_add_co_u32 v15, s2, v10, s14
	s_clause 0x7
	global_load_b32 v24, v[12:13], off offset:68
	global_load_b32 v25, v[12:13], off offset:152
	;; [unrolled: 1-line block ×8, first 2 shown]
	s_wait_alu 0xf1ff
	v_add_co_ci_u32_e64 v16, s2, s15, v11, s2
	v_mad_co_u64_u32 v[17:18], null, s9, v83, v[7:8]
	v_mad_co_u64_u32 v[18:19], null, s8, v81, 0
	v_lshlrev_b64_e32 v[8:9], 2, v[8:9]
	v_add_co_u32 v0, s2, v4, v0
	s_wait_alu 0xf1ff
	v_add_co_ci_u32_e64 v1, s2, v5, v1, s2
	v_mov_b32_e32 v7, v17
	v_mov_b32_e32 v17, v19
	s_clause 0x4
	global_load_b32 v32, v[12:13], off offset:740
	global_load_b32 v33, v[12:13], off offset:824
	;; [unrolled: 1-line block ×5, first 2 shown]
	v_add_co_u32 v8, s2, v4, v8
	v_lshlrev_b64_e32 v[6:7], 2, v[6:7]
	v_mad_co_u64_u32 v[19:20], null, s9, v81, v[17:18]
	s_clause 0x3
	global_load_b32 v17, v[12:13], off offset:1160
	global_load_b32 v20, v[12:13], off offset:1244
	;; [unrolled: 1-line block ×4, first 2 shown]
	global_load_b32 v39, v[10:11], off
	global_load_b32 v40, v[15:16], off
	s_wait_alu 0xf1ff
	v_add_co_ci_u32_e64 v9, s2, v5, v9, s2
	v_add_co_u32 v6, s2, v4, v6
	v_lshlrev_b64_e32 v[10:11], 2, v[18:19]
	s_wait_alu 0xf1ff
	v_add_co_ci_u32_e64 v7, s2, v5, v7, s2
	s_delay_alu instid0(VALU_DEP_2) | instskip(SKIP_1) | instid1(VALU_DEP_3)
	v_add_co_u32 v4, s2, v4, v10
	s_wait_alu 0xf1ff
	v_add_co_ci_u32_e64 v5, s2, v5, v11, s2
	s_clause 0x3
	global_load_b32 v10, v[0:1], off
	global_load_b32 v8, v[8:9], off
	;; [unrolled: 1-line block ×4, first 2 shown]
	v_add_co_u32 v0, s2, v15, s14
	s_wait_alu 0xf1ff
	v_add_co_ci_u32_e64 v1, s2, s15, v16, s2
	global_load_b32 v9, v[0:1], off
	v_add_co_u32 v0, s2, v0, s16
	s_wait_alu 0xf1ff
	v_add_co_ci_u32_e64 v1, s2, s17, v1, s2
	global_load_b32 v11, v[0:1], off
	;; [unrolled: 4-line block ×3, first 2 shown]
	v_add_co_u32 v0, s2, v0, s14
	s_wait_alu 0xf1ff
	v_add_co_ci_u32_e64 v1, s2, s15, v1, s2
	s_delay_alu instid0(VALU_DEP_2) | instskip(SKIP_1) | instid1(VALU_DEP_2)
	v_add_co_u32 v4, s2, v0, s16
	s_wait_alu 0xf1ff
	v_add_co_ci_u32_e64 v5, s2, s17, v1, s2
	global_load_b32 v16, v[0:1], off
	v_add_co_u32 v0, s2, v4, s14
	s_wait_alu 0xf1ff
	v_add_co_ci_u32_e64 v1, s2, s15, v5, s2
	global_load_b32 v18, v[4:5], off
	;; [unrolled: 4-line block ×4, first 2 shown]
	global_load_b32 v0, v[0:1], off
	s_wait_loadcnt 0x21
	v_lshrrev_b32_e32 v54, 16, v21
	s_wait_loadcnt 0x20
	v_lshrrev_b32_e32 v59, 16, v22
	;; [unrolled: 2-line block ×7, first 2 shown]
	v_mul_f16_e32 v58, v1, v21
	v_mul_f16_e32 v1, v1, v54
	;; [unrolled: 1-line block ×4, first 2 shown]
	s_wait_loadcnt 0x19
	v_lshrrev_b32_e32 v44, 16, v29
	v_fma_f16 v54, v24, v54, -v58
	v_fmac_f16_e32 v1, v24, v21
	v_lshrrev_b32_e32 v21, 16, v23
	v_fma_f16 v24, v25, v59, -v61
	v_mul_f16_e32 v58, v41, v23
	v_fmac_f16_e32 v5, v25, v22
	s_wait_loadcnt 0x18
	v_lshrrev_b32_e32 v46, 16, v30
	v_mul_f16_e32 v22, v41, v21
	v_pack_b32_f16 v1, v1, v54
	v_fma_f16 v21, v26, v21, -v58
	v_pack_b32_f16 v5, v5, v24
	s_wait_loadcnt 0x17
	v_lshrrev_b32_e32 v47, 16, v31
	v_fmac_f16_e32 v22, v26, v23
	s_wait_loadcnt 0x13
	v_lshrrev_b32_e32 v52, 16, v35
	v_lshrrev_b32_e32 v48, 16, v32
	ds_store_2addr_b32 v65, v1, v5 offset0:17 offset1:38
	v_lshrrev_b32_e32 v50, 16, v33
	s_wait_loadcnt 0xd
	v_lshrrev_b32_e32 v25, 16, v39
	v_mul_f16_e32 v41, v43, v39
	s_wait_loadcnt 0xc
	v_mul_f16_e32 v26, v44, v40
	v_pack_b32_f16 v1, v22, v21
	v_lshrrev_b32_e32 v57, 16, v37
	v_mul_f16_e32 v23, v43, v25
	v_fma_f16 v24, v28, v25, -v41
	v_lshrrev_b32_e32 v25, 16, v40
	v_lshrrev_b32_e32 v51, 16, v34
	;; [unrolled: 1-line block ×3, first 2 shown]
	v_fmac_f16_e32 v23, v28, v39
	v_lshrrev_b32_e32 v55, 16, v17
	v_mul_f16_e32 v5, v44, v25
	s_wait_loadcnt 0xb
	v_lshrrev_b32_e32 v41, 16, v10
	s_wait_loadcnt 0xa
	v_lshrrev_b32_e32 v54, 16, v8
	;; [unrolled: 2-line block ×3, first 2 shown]
	v_fma_f16 v21, v29, v25, -v26
	v_mul_f16_e32 v43, v42, v10
	v_mul_f16_e32 v26, v42, v41
	;; [unrolled: 1-line block ×4, first 2 shown]
	v_pack_b32_f16 v23, v23, v24
	v_mul_f16_e32 v58, v47, v8
	v_fmac_f16_e32 v5, v29, v40
	s_wait_loadcnt 0x7
	v_lshrrev_b32_e32 v22, 16, v9
	v_mul_f16_e32 v25, v46, v9
	v_lshrrev_b32_e32 v62, 16, v7
	v_mul_f16_e32 v61, v52, v6
	v_fma_f16 v28, v27, v41, -v43
	v_mul_f16_e32 v24, v46, v22
	v_fma_f16 v22, v30, v22, -v25
	v_fmac_f16_e32 v26, v27, v10
	s_wait_loadcnt 0x6
	v_lshrrev_b32_e32 v25, 16, v11
	v_fmac_f16_e32 v39, v31, v8
	v_fmac_f16_e32 v42, v35, v6
	;; [unrolled: 1-line block ×3, first 2 shown]
	v_fma_f16 v41, v31, v54, -v58
	v_mul_f16_e32 v6, v48, v25
	v_pack_b32_f16 v5, v5, v21
	v_mul_f16_e32 v44, v57, v62
	s_wait_loadcnt 0x5
	v_lshrrev_b32_e32 v8, 16, v15
	v_mul_f16_e32 v9, v50, v15
	v_mul_f16_e32 v29, v48, v11
	v_pack_b32_f16 v10, v26, v28
	v_fmac_f16_e32 v6, v32, v11
	v_mul_f16_e32 v11, v50, v8
	v_fma_f16 v8, v33, v8, -v9
	v_pack_b32_f16 v21, v39, v41
	ds_store_2addr_b32 v65, v23, v5 offset0:101 offset1:122
	v_pack_b32_f16 v5, v24, v22
	s_wait_loadcnt 0x4
	v_lshrrev_b32_e32 v9, 16, v16
	v_mul_f16_e32 v63, v57, v7
	v_fmac_f16_e32 v44, v37, v7
	v_fma_f16 v7, v32, v25, -v29
	v_mul_f16_e32 v22, v51, v16
	ds_store_2addr_b32 v65, v1, v10 offset0:59 offset1:80
	ds_store_2addr_b32 v65, v5, v21 offset0:143 offset1:164
	v_mul_f16_e32 v5, v51, v9
	v_fmac_f16_e32 v11, v33, v15
	v_pack_b32_f16 v1, v6, v7
	s_wait_loadcnt 0x3
	v_lshrrev_b32_e32 v6, 16, v18
	v_mul_f16_e32 v7, v53, v18
	v_fma_f16 v9, v34, v9, -v22
	v_fmac_f16_e32 v5, v34, v16
	v_lshrrev_b32_e32 v56, 16, v20
	v_mul_f16_e32 v10, v53, v6
	v_fma_f16 v6, v36, v6, -v7
	s_wait_loadcnt 0x2
	v_lshrrev_b32_e32 v7, 16, v19
	v_pack_b32_f16 v8, v11, v8
	v_mul_f16_e32 v11, v55, v19
	v_pack_b32_f16 v5, v5, v9
	s_wait_loadcnt 0x1
	v_lshrrev_b32_e32 v9, 16, v4
	v_lshrrev_b32_e32 v60, 16, v38
	s_wait_loadcnt 0x0
	v_lshrrev_b32_e32 v15, 16, v0
	v_mul_f16_e32 v16, v55, v7
	v_fmac_f16_e32 v10, v36, v18
	v_fma_f16 v7, v17, v7, -v11
	v_mul_f16_e32 v11, v56, v4
	v_mul_f16_e32 v18, v56, v9
	;; [unrolled: 1-line block ×4, first 2 shown]
	v_fma_f16 v43, v35, v59, -v61
	v_fmac_f16_e32 v16, v17, v19
	v_fma_f16 v47, v37, v62, -v63
	v_fma_f16 v9, v20, v9, -v11
	v_fmac_f16_e32 v18, v20, v4
	v_fmac_f16_e32 v21, v38, v0
	v_fma_f16 v0, v38, v15, -v22
	v_pack_b32_f16 v25, v42, v43
	v_pack_b32_f16 v4, v10, v6
	;; [unrolled: 1-line block ×6, first 2 shown]
	ds_store_2addr_b32 v65, v1, v8 offset0:185 offset1:206
	ds_store_2addr_b32 v65, v5, v25 offset0:227 offset1:248
	ds_store_2addr_b32 v3, v4, v6 offset0:13 offset1:34
	ds_store_2addr_b32 v3, v7, v9 offset0:55 offset1:76
	ds_store_b32 v65, v0 offset:1412
.LBB0_3:
	s_wait_alu 0xfffe
	s_or_b32 exec_lo, exec_lo, s3
	global_wb scope:SCOPE_SE
	s_wait_storecnt_dscnt 0x0
	s_wait_kmcnt 0x0
	s_barrier_signal -1
	s_barrier_wait -1
	global_inv scope:SCOPE_SE
	ds_load_2addr_b32 v[27:28], v65 offset1:21
	ds_load_2addr_b32 v[31:32], v65 offset0:42 offset1:63
	ds_load_2addr_b32 v[17:18], v65 offset0:84 offset1:105
	;; [unrolled: 1-line block ×7, first 2 shown]
	ds_load_b32 v107, v65 offset:1344
	s_load_b64 s[0:1], s[0:1], 0x8
	v_mov_b32_e32 v0, 0
                                        ; implicit-def: $vgpr9
                                        ; implicit-def: $vgpr6
                                        ; implicit-def: $vgpr11
                                        ; implicit-def: $vgpr4
                                        ; implicit-def: $vgpr26
                                        ; implicit-def: $vgpr2
                                        ; implicit-def: $vgpr24
                                        ; implicit-def: $vgpr35
	s_and_saveexec_b32 s2, vcc_lo
	s_cbranch_execz .LBB0_5
; %bb.4:
	v_add_nc_u32_e32 v2, 0x400, v65
	ds_load_2addr_b32 v[0:1], v65 offset0:17 offset1:38
	ds_load_2addr_b32 v[23:24], v65 offset0:59 offset1:80
	;; [unrolled: 1-line block ×8, first 2 shown]
	ds_load_b32 v35, v65 offset:1412
.LBB0_5:
	s_wait_alu 0xfffe
	s_or_b32 exec_lo, exec_lo, s2
	s_wait_dscnt 0x8
	v_pk_add_f16 v36, v27, v28
	s_wait_dscnt 0x0
	v_pk_add_f16 v128, v1, v35 neg_lo:[0,1] neg_hi:[0,1]
	v_pk_add_f16 v135, v16, v21
	v_pk_add_f16 v144, v21, v16 neg_lo:[0,1] neg_hi:[0,1]
	v_pk_add_f16 v129, v23, v3 neg_lo:[0,1] neg_hi:[0,1]
	v_pk_add_f16 v36, v36, v31
	v_lshrrev_b32_e32 v131, 16, v128
	v_pk_add_f16 v57, v35, v1
	v_pk_add_f16 v139, v20, v17
	v_lshrrev_b32_e32 v132, 16, v129
	v_pk_add_f16 v36, v36, v32
	v_pk_add_f16 v156, v17, v20 neg_lo:[0,1] neg_hi:[0,1]
	v_mul_f16_e64 v64, 0xbb29, v131
	v_pk_add_f16 v108, v3, v23
	v_mul_f16_e64 v63, 0xba62, v132
	v_pk_add_f16 v36, v36, v17
	v_pk_add_f16 v138, v19, v18
	v_pk_add_f16 v154, v18, v19 neg_lo:[0,1] neg_hi:[0,1]
	v_pk_add_f16 v122, v24, v2 neg_lo:[0,1] neg_hi:[0,1]
	v_pk_add_f16 v112, v2, v24
	v_pk_add_f16 v36, v36, v18
	v_fmamk_f16 v18, v108, 0xb8d2, v63
	v_pk_add_f16 v134, v15, v22
	v_lshrrev_b32_e32 v127, 16, v122
	v_pk_add_f16 v145, v22, v15 neg_lo:[0,1] neg_hi:[0,1]
	v_pk_add_f16 v36, v36, v21
	v_mul_f16_e64 v37, 0xb964, v132
	v_pk_add_f16 v119, v25, v5 neg_lo:[0,1] neg_hi:[0,1]
	v_mul_f16_e32 v109, 0x31e1, v127
	v_mul_f16_e64 v56, 0xb964, v131
	v_pk_add_f16 v36, v36, v22
	v_mul_f16_e64 v55, 0xbbf7, v132
	v_lshrrev_b32_e32 v121, 16, v119
	v_pk_add_f16 v123, v5, v25
	v_mul_f16_e32 v42, 0xbb29, v127
	v_pk_add_f16 v36, v36, v29
	v_fmamk_f16 v22, v108, 0x2de8, v55
	v_mul_f16_e32 v61, 0x3bb2, v121
	v_pk_add_f16 v116, v26, v4 neg_lo:[0,1] neg_hi:[0,1]
	v_mul_f16_e32 v51, 0xba62, v127
	v_pk_add_f16 v36, v36, v30
	v_mul_f16_e32 v50, 0xbbf7, v121
	v_pk_add_f16 v124, v4, v26
	v_lshrrev_b32_e32 v118, 16, v116
	v_mul_f16_e32 v52, 0xb1e1, v121
	v_pk_add_f16 v21, v36, v15
	v_mul_f16_e64 v36, 0xb5c8, v131
	v_pk_add_f16 v114, v10, v7 neg_lo:[0,1] neg_hi:[0,1]
	v_mul_f16_e32 v62, 0x3964, v118
	v_mul_f16_e32 v39, 0xbbb2, v118
	v_pk_add_f16 v21, v21, v16
	v_fmamk_f16 v15, v57, 0x3b76, v36
	v_fmamk_f16 v16, v108, 0x39e9, v37
	v_lshrrev_b32_e32 v115, 16, v114
	v_mul_f16_e32 v53, 0x3836, v118
	v_pk_add_f16 v17, v21, v19
	v_mul_f16_e64 v19, 0xb1e1, v132
	v_add_f16_e32 v15, v15, v0
	v_pk_add_f16 v125, v7, v10
	v_mul_f16_e32 v59, 0xb5c8, v115
	v_pk_add_f16 v141, v17, v20
	v_fmamk_f16 v17, v57, 0x3722, v64
	v_fma_f16 v137, v108, 0xbbdd, -v19
	v_fmac_f16_e32 v19, 0xbbdd, v108
	v_add_f16_e32 v15, v16, v15
	v_fmamk_f16 v16, v57, 0x39e9, v56
	v_add_f16_e32 v17, v17, v0
	v_mul_f16_e32 v47, 0xba62, v115
	v_pk_add_f16 v106, v11, v6 neg_lo:[0,1] neg_hi:[0,1]
	v_mul_f16_e32 v54, 0x3bb2, v115
	v_add_f16_e32 v16, v16, v0
	v_add_f16_e32 v17, v18, v17
	v_mul_f16_e64 v18, 0xbbf7, v131
	v_lshrrev_b32_e32 v113, 16, v106
	v_pk_add_f16 v110, v6, v11
	v_add_f16_e32 v16, v22, v16
	v_fmamk_f16 v22, v112, 0x3722, v42
	v_fma_f16 v136, v57, 0x2de8, -v18
	v_fmac_f16_e32 v18, 0x2de8, v57
	v_mul_f16_e32 v48, 0xb836, v113
	v_pk_add_f16 v44, v8, v9 neg_lo:[0,1] neg_hi:[0,1]
	v_add_f16_e32 v15, v22, v15
	v_fmamk_f16 v22, v112, 0xb8d2, v51
	v_add_f16_e32 v18, v18, v0
	v_mul_f16_e32 v60, 0xbbf7, v113
	v_mul_f16_e32 v38, 0x3b29, v113
	v_lshrrev_b32_e32 v41, 16, v44
	v_add_f16_e32 v16, v22, v16
	v_add_f16_e32 v18, v19, v18
	v_fmamk_f16 v19, v112, 0xbbdd, v109
	v_fmamk_f16 v22, v123, 0x2de8, v50
	v_pk_add_f16 v111, v9, v8
	v_mul_f16_e32 v43, 0xb1e1, v41
	v_mul_f16_e32 v40, 0x35c8, v41
	v_add_f16_e32 v17, v19, v17
	v_mul_f16_e32 v19, 0x3bb2, v127
	v_add_f16_e32 v15, v22, v15
	v_fmamk_f16 v22, v123, 0xbbdd, v52
	v_mul_f16_e32 v20, 0x3964, v41
	v_mul_f16_e32 v58, 0xb836, v41
	v_fma_f16 v133, v112, 0xb461, -v19
	v_fmac_f16_e32 v19, 0xb461, v112
	v_add_f16_e32 v16, v22, v16
	v_fmamk_f16 v22, v124, 0xb461, v39
	v_fma_f16 v46, v111, 0x39e9, -v20
	v_fmac_f16_e32 v20, 0x39e9, v111
	v_add_f16_e32 v18, v19, v18
	v_fmamk_f16 v19, v123, 0xb461, v61
	v_add_f16_e32 v15, v22, v15
	v_fmamk_f16 v22, v124, 0xbacd, v53
	v_mul_f16_e64 v21, 0xbbb2, v131
	v_mul_f16_e64 v140, 0xba62, v131
	v_add_f16_e32 v17, v19, v17
	v_mul_f16_e32 v19, 0x35c8, v121
	v_add_f16_e32 v16, v22, v16
	v_fmamk_f16 v22, v125, 0xb8d2, v47
	v_mul_f16_e64 v142, 0x3bb2, v132
	v_pk_add_f16 v203, v28, v107 neg_lo:[0,1] neg_hi:[0,1]
	v_fma_f16 v130, v123, 0x3b76, -v19
	v_fmac_f16_e32 v19, 0x3b76, v123
	v_add_f16_e32 v15, v22, v15
	v_fmamk_f16 v22, v125, 0xb461, v54
	v_fma_f16 v143, v108, 0xb461, -v142
	v_fmac_f16_e64 v142, 0xb461, v108
	v_add_f16_e32 v18, v19, v18
	v_fmamk_f16 v19, v124, 0x39e9, v62
	v_add_f16_e32 v16, v22, v16
	v_fmamk_f16 v22, v110, 0xbacd, v48
	v_pk_add_f16 v184, v31, v34 neg_lo:[0,1] neg_hi:[0,1]
	v_pk_add_f16 v183, v32, v33 neg_lo:[0,1] neg_hi:[0,1]
	v_add_f16_e32 v17, v19, v17
	v_mul_f16_e32 v19, 0xbb29, v118
	v_add_f16_e32 v15, v22, v15
	v_fmamk_f16 v22, v110, 0x3722, v38
	v_lshrrev_b32_e32 v206, 16, v184
	v_mul_f16_e64 v176, 0xb836, v203
	v_fma_f16 v126, v124, 0x3722, -v19
	v_fmac_f16_e32 v19, 0x3722, v124
	v_add_f16_e32 v22, v22, v16
	v_fmamk_f16 v16, v111, 0xbbdd, v43
	v_mul_f16_e64 v174, 0x3b29, v206
	v_mul_f16_e64 v177, 0x3b29, v184
	v_add_f16_e32 v18, v19, v18
	v_fmamk_f16 v19, v125, 0x3b76, v59
	v_add_f16_e32 v16, v16, v15
	v_fmamk_f16 v15, v111, 0x3b76, v40
	v_lshrrev_b32_e32 v207, 16, v183
	v_mul_f16_e64 v175, 0xbbf7, v183
	v_add_f16_e32 v17, v19, v17
	v_mul_f16_e32 v19, 0xb836, v115
	v_add_f16_e32 v15, v15, v22
	v_mul_f16_e64 v22, 0x3836, v132
	v_mul_f16_e64 v173, 0xbbf7, v207
	v_lshrrev_b32_e32 v205, 16, v156
	v_fma_f16 v120, v125, 0xbacd, -v19
	v_fmac_f16_e32 v19, 0xbacd, v125
	v_mul_f16_e64 v171, 0x3a62, v156
	v_lshrrev_b32_e32 v204, 16, v154
	v_mul_f16_e64 v170, 0x3a62, v205
	v_mul_f16_e64 v168, 0xb5c8, v154
	v_add_f16_e32 v18, v19, v18
	v_fmamk_f16 v19, v110, 0x2de8, v60
	v_mul_f16_e64 v167, 0xb5c8, v204
	v_lshrrev_b32_e32 v202, 16, v144
	v_mul_f16_e64 v166, 0xb1e1, v144
	v_lshrrev_b32_e32 v201, 16, v145
	v_add_f16_e32 v17, v19, v17
	v_mul_f16_e32 v19, 0x3a62, v113
	v_mul_f16_e64 v165, 0xb1e1, v202
	v_mul_f16_e64 v180, 0x3964, v145
	;; [unrolled: 1-line block ×3, first 2 shown]
	global_wb scope:SCOPE_SE
	v_fma_f16 v117, v110, 0xb8d2, -v19
	v_fmac_f16_e32 v19, 0xb8d2, v110
	s_wait_kmcnt 0x0
	s_barrier_signal -1
	s_barrier_wait -1
	global_inv scope:SCOPE_SE
	v_mul_f16_e64 v182, 0xb964, v203
	v_add_f16_e32 v19, v19, v18
	v_fmamk_f16 v18, v111, 0xbacd, v58
	v_mul_f16_e64 v181, 0xbbf7, v184
	v_mul_f16_e64 v186, 0xba62, v183
	;; [unrolled: 1-line block ×3, first 2 shown]
	v_pk_mul_f16 v162, 0xb461bacd, v138
	v_add_f16_e32 v18, v18, v17
	v_add_f16_e32 v17, v20, v19
	v_fma_f16 v19, v57, 0xb461, -v21
	v_fma_f16 v20, v108, 0xbacd, -v22
	v_fmac_f16_e32 v21, 0xb461, v57
	v_fmac_f16_e32 v22, 0xbacd, v108
	v_pk_fma_f16 v189, 0x3836bbb2, v154, v162 op_sel:[0,0,1] op_sel_hi:[1,1,0]
	v_add_f16_e32 v19, v19, v0
	v_mul_f16_e64 v190, 0x3836, v154
	v_add_f16_e32 v21, v21, v0
	v_pk_mul_f16 v164, 0xb8d2b461, v135
	v_mul_f16_e64 v194, 0x3bb2, v144
	v_add_f16_e32 v19, v20, v19
	v_fma_f16 v20, v57, 0xb8d2, -v140
	v_fmac_f16_e64 v140, 0xb8d2, v57
	v_add_f16_e32 v21, v22, v21
	v_pk_fma_f16 v191, 0x3bb2ba62, v144, v164 op_sel:[0,0,1] op_sel_hi:[1,1,0]
	v_mul_f16_e64 v196, 0x3b29, v145
	v_add_f16_e32 v20, v20, v0
	v_add_f16_e64 v22, v140, v0
	v_mul_f16_e64 v211, 0xbb29, v203
	v_mul_f16_e64 v233, 0xb1e1, v206
	;; [unrolled: 1-line block ×3, first 2 shown]
	v_add_f16_e64 v20, v143, v20
	v_mul_f16_e64 v143, 0x3964, v127
	v_add_f16_e64 v22, v142, v22
	v_mul_f16_e64 v235, 0xb1e1, v184
	v_mul_f16_e64 v236, 0x3bb2, v207
	;; [unrolled: 1-line block ×3, first 2 shown]
	v_fma_f16 v146, v112, 0x39e9, -v143
	v_fmac_f16_e64 v143, 0x39e9, v112
	v_mul_f16_e64 v238, 0x35c8, v205
	v_mul_f16_e64 v239, 0x35c8, v156
	;; [unrolled: 1-line block ×3, first 2 shown]
	v_add_f16_e64 v19, v146, v19
	v_mul_f16_e64 v146, 0xb5c8, v127
	v_add_f16_e64 v21, v143, v21
	v_mul_f16_e64 v241, 0xbb29, v154
	v_mul_f16_e64 v247, 0x3a62, v201
	;; [unrolled: 1-line block ×3, first 2 shown]
	v_fma_f16 v147, v112, 0x3b76, -v146
	v_fmac_f16_e64 v146, 0x3b76, v112
	v_mul_f16_e32 v127, 0xbbf7, v127
	s_delay_alu instid0(VALU_DEP_3) | instskip(SKIP_1) | instid1(VALU_DEP_4)
	v_add_f16_e64 v20, v147, v20
	v_mul_f16_e64 v147, 0xbb29, v121
	v_add_f16_e64 v22, v146, v22
	s_delay_alu instid0(VALU_DEP_2) | instskip(SKIP_1) | instid1(VALU_DEP_2)
	v_fma_f16 v148, v123, 0x3722, -v147
	v_fmac_f16_e64 v147, 0x3722, v123
	v_add_f16_e64 v19, v148, v19
	v_mul_f16_e64 v148, 0xb836, v121
	s_delay_alu instid0(VALU_DEP_3) | instskip(SKIP_1) | instid1(VALU_DEP_3)
	v_add_f16_e64 v21, v147, v21
	v_mul_f16_e32 v121, 0x3a62, v121
	v_fma_f16 v149, v123, 0xbacd, -v148
	v_fmac_f16_e64 v148, 0xbacd, v123
	s_delay_alu instid0(VALU_DEP_2) | instskip(SKIP_1) | instid1(VALU_DEP_3)
	v_add_f16_e64 v20, v149, v20
	v_mul_f16_e64 v149, 0xb1e1, v118
	v_add_f16_e64 v22, v148, v22
	v_lshrrev_b32_e32 v148, 16, v203
	s_delay_alu instid0(VALU_DEP_3) | instskip(SKIP_1) | instid1(VALU_DEP_2)
	v_fma_f16 v150, v124, 0xbbdd, -v149
	v_fmac_f16_e64 v149, 0xbbdd, v124
	v_add_f16_e64 v19, v150, v19
	v_mul_f16_e64 v150, 0x3bf7, v118
	s_delay_alu instid0(VALU_DEP_3) | instskip(SKIP_1) | instid1(VALU_DEP_3)
	v_add_f16_e64 v21, v149, v21
	v_mul_f16_e32 v118, 0xb5c8, v118
	v_fma_f16 v151, v124, 0x2de8, -v150
	v_fmac_f16_e64 v150, 0x2de8, v124
	s_delay_alu instid0(VALU_DEP_2) | instskip(SKIP_1) | instid1(VALU_DEP_3)
	v_add_f16_e64 v20, v151, v20
	v_mul_f16_e64 v151, 0x3bf7, v115
	v_add_f16_e64 v22, v150, v22
	v_pk_add_f16 v150, v107, v28
	s_delay_alu instid0(VALU_DEP_3) | instskip(SKIP_1) | instid1(VALU_DEP_2)
	v_fma_f16 v152, v125, 0x2de8, -v151
	v_fmac_f16_e64 v151, 0x2de8, v125
	v_add_f16_e64 v19, v152, v19
	v_mul_f16_e64 v152, 0xb964, v115
	s_delay_alu instid0(VALU_DEP_3) | instskip(SKIP_2) | instid1(VALU_DEP_4)
	v_add_f16_e64 v21, v151, v21
	v_mul_f16_e64 v151, 0xb836, v148
	v_mul_f16_e32 v115, 0xb1e1, v115
	v_fma_f16 v153, v125, 0x39e9, -v152
	v_fmac_f16_e64 v152, 0x39e9, v125
	s_delay_alu instid0(VALU_DEP_4) | instskip(SKIP_1) | instid1(VALU_DEP_4)
	v_fma_f16 v28, v150, 0xbacd, -v151
	v_fmac_f16_e64 v151, 0xbacd, v150
	v_add_f16_e64 v20, v153, v20
	v_mul_f16_e64 v153, 0xb5c8, v113
	v_add_f16_e64 v22, v152, v22
	v_add_f16_e32 v28, v27, v28
	v_add_f16_e64 v224, v27, v151
	s_delay_alu instid0(VALU_DEP_4) | instskip(SKIP_1) | instid1(VALU_DEP_2)
	v_fma_f16 v155, v110, 0x3b76, -v153
	v_fmac_f16_e64 v153, 0x3b76, v110
	v_add_f16_e64 v19, v155, v19
	v_mul_f16_e64 v155, 0xb1e1, v113
	s_delay_alu instid0(VALU_DEP_3) | instskip(SKIP_1) | instid1(VALU_DEP_3)
	v_add_f16_e64 v21, v153, v21
	v_mul_f16_e32 v113, 0x3964, v113
	v_fma_f16 v157, v110, 0xbbdd, -v155
	v_fmac_f16_e64 v155, 0xbbdd, v110
	s_delay_alu instid0(VALU_DEP_2) | instskip(SKIP_1) | instid1(VALU_DEP_3)
	v_add_f16_e64 v20, v157, v20
	v_mul_f16_e64 v157, 0xba62, v41
	v_add_f16_e64 v140, v155, v22
	v_mul_f16_e64 v155, 0xbb29, v148
	s_delay_alu instid0(VALU_DEP_3) | instskip(SKIP_1) | instid1(VALU_DEP_2)
	v_fma_f16 v158, v111, 0xb8d2, -v157
	v_fmac_f16_e64 v157, 0xb8d2, v111
	v_add_f16_e64 v19, v158, v19
	v_mul_f16_e64 v158, 0x3b29, v41
	s_delay_alu instid0(VALU_DEP_3) | instskip(SKIP_2) | instid1(VALU_DEP_4)
	v_add_f16_e64 v22, v157, v21
	v_fma_f16 v157, v150, 0x3722, -v155
	v_fmac_f16_e64 v155, 0x3722, v150
	v_fma_f16 v159, v111, 0x3722, -v158
	v_fmac_f16_e64 v158, 0x3722, v111
	s_delay_alu instid0(VALU_DEP_4) | instskip(NEXT) | instid1(VALU_DEP_4)
	v_add_f16_e64 v209, v27, v157
	v_add_f16_e64 v169, v27, v155
	v_mul_f16_e64 v155, 0xbbb2, v148
	v_add_f16_e64 v20, v159, v20
	v_add_f16_e64 v21, v158, v140
	v_pk_add_f16 v140, v34, v31
	v_pk_add_f16 v31, v33, v32
	v_pk_add_f16 v32, v141, v33
	v_fma_f16 v159, v150, 0xb461, -v155
	v_fmac_f16_e64 v155, 0xb461, v150
	s_delay_alu instid0(VALU_DEP_3) | instskip(SKIP_1) | instid1(VALU_DEP_4)
	v_pk_add_f16 v146, v32, v34
	v_fma_f16 v32, v140, 0x3722, -v174
	v_add_f16_e64 v226, v27, v159
	s_delay_alu instid0(VALU_DEP_4)
	v_add_f16_e64 v199, v27, v155
	v_fmac_f16_e64 v174, 0x3722, v140
	v_pk_add_f16 v146, v146, v107
	v_add_f16_e32 v34, v32, v28
	v_lshrrev_b32_e32 v32, 16, v150
	v_lshrrev_b32_e32 v28, 16, v27
	v_mul_lo_u16 v107, v96, 17
	s_delay_alu instid0(VALU_DEP_3) | instskip(NEXT) | instid1(VALU_DEP_2)
	v_fma_f16 v33, 0xbacd, v32, v176
	v_and_b32_e32 v107, 0xffff, v107
	s_delay_alu instid0(VALU_DEP_2) | instskip(SKIP_1) | instid1(VALU_DEP_3)
	v_add_f16_e64 v141, v28, v33
	v_lshrrev_b32_e32 v33, 16, v140
	v_lshl_add_u32 v107, v107, 2, v70
	s_delay_alu instid0(VALU_DEP_2) | instskip(SKIP_1) | instid1(VALU_DEP_2)
	v_fma_f16 v142, 0x3722, v33, v177
	v_fma_f16 v215, 0xbbdd, v33, v235
	v_add_f16_e64 v141, v142, v141
	v_fma_f16 v142, v31, 0x2de8, -v173
	v_fmac_f16_e64 v173, 0x2de8, v31
	s_delay_alu instid0(VALU_DEP_2) | instskip(SKIP_1) | instid1(VALU_DEP_1)
	v_add_f16_e64 v142, v142, v34
	v_lshrrev_b32_e32 v34, 16, v31
	v_fma_f16 v143, 0x2de8, v34, v175
	s_delay_alu instid0(VALU_DEP_1) | instskip(SKIP_2) | instid1(VALU_DEP_2)
	v_add_f16_e64 v143, v143, v141
	v_fma_f16 v141, v139, 0xb8d2, -v170
	v_fmac_f16_e64 v170, 0xb8d2, v139
	v_add_f16_e64 v142, v141, v142
	v_lshrrev_b32_e32 v141, 16, v139
	s_delay_alu instid0(VALU_DEP_1) | instskip(NEXT) | instid1(VALU_DEP_1)
	v_fma_f16 v147, 0xb8d2, v141, v171
	v_add_f16_e64 v143, v147, v143
	v_fma_f16 v147, v138, 0x3b76, -v167
	v_fmac_f16_e64 v167, 0x3b76, v138
	s_delay_alu instid0(VALU_DEP_2) | instskip(SKIP_1) | instid1(VALU_DEP_1)
	v_add_f16_e64 v147, v147, v142
	v_lshrrev_b32_e32 v142, 16, v138
	v_fma_f16 v149, 0x3b76, v142, v168
	s_delay_alu instid0(VALU_DEP_1) | instskip(SKIP_2) | instid1(VALU_DEP_2)
	v_add_f16_e64 v149, v149, v143
	v_fma_f16 v143, v135, 0xbbdd, -v165
	v_fmac_f16_e64 v165, 0xbbdd, v135
	v_add_f16_e64 v147, v143, v147
	v_lshrrev_b32_e32 v143, 16, v135
	s_delay_alu instid0(VALU_DEP_1) | instskip(NEXT) | instid1(VALU_DEP_1)
	v_fma_f16 v152, 0xbbdd, v143, v166
	v_add_f16_e64 v149, v152, v149
	v_fma_f16 v152, v134, 0x39e9, -v178
	v_fmac_f16_e64 v178, 0x39e9, v134
	s_delay_alu instid0(VALU_DEP_2) | instskip(SKIP_1) | instid1(VALU_DEP_1)
	v_add_f16_e64 v152, v152, v147
	v_lshrrev_b32_e32 v147, 16, v134
	v_fma_f16 v153, 0x39e9, v147, v180
	s_delay_alu instid0(VALU_DEP_1) | instskip(SKIP_2) | instid1(VALU_DEP_2)
	v_add_f16_e64 v153, v153, v149
	v_pk_add_f16 v149, v29, v30 neg_lo:[0,1] neg_hi:[0,1]
	v_pk_add_f16 v29, v30, v29
	v_lshrrev_b32_e32 v222, 16, v149
	s_delay_alu instid0(VALU_DEP_2) | instskip(SKIP_4) | instid1(VALU_DEP_1)
	v_lshrrev_b32_e32 v160, 16, v29
	v_mul_f16_e64 v193, 0xbbb2, v149
	v_pk_mul_f16 v198, 0xbbdd3b76, v29
	v_mul_f16_e64 v251, 0x3964, v149
	v_mul_f16_e64 v192, 0xbbb2, v222
	v_fma_f16 v30, v29, 0xb461, -v192
	v_fmac_f16_e64 v192, 0xb461, v29
	s_delay_alu instid0(VALU_DEP_2) | instskip(SKIP_1) | instid1(VALU_DEP_1)
	v_add_f16_e64 v30, v30, v152
	v_fma_f16 v152, 0xb461, v160, v193
	v_add_f16_e64 v152, v152, v153
	v_pk_mul_f16 v153, 0x3b7639e9, v150
	s_delay_alu instid0(VALU_DEP_2) | instskip(SKIP_2) | instid1(VALU_DEP_1)
	v_pack_b32_f16 v30, v30, v152
	ds_store_2addr_b32 v107, v146, v30 offset1:7
	v_mul_f16_e64 v30, 0xb5c8, v148
	v_fma_f16 v146, v150, 0x3b76, -v30
	v_fmac_f16_e64 v30, 0x3b76, v150
	s_delay_alu instid0(VALU_DEP_2) | instskip(SKIP_2) | instid1(VALU_DEP_4)
	v_add_f16_e64 v152, v27, v146
	v_pk_fma_f16 v146, 0xb964b5c8, v203, v153 op_sel:[0,0,1] op_sel_hi:[1,1,0] neg_lo:[0,1,0] neg_hi:[0,1,0]
	v_pk_fma_f16 v153, 0xb964b5c8, v203, v153 op_sel:[0,0,1] op_sel_hi:[1,1,0]
	v_add_f16_e32 v30, v27, v30
	s_delay_alu instid0(VALU_DEP_2) | instskip(SKIP_3) | instid1(VALU_DEP_4)
	v_bfi_b32 v158, 0xffff, v153, v146
	v_pk_add_f16 v172, v27, v153 op_sel:[1,0] op_sel_hi:[0,1]
	v_mul_f16_e64 v153, 0xbbf7, v148
	v_mul_f16_e64 v148, 0xba62, v148
	v_pk_add_f16 v158, v27, v158 op_sel:[1,0] op_sel_hi:[0,1]
	s_delay_alu instid0(VALU_DEP_3) | instskip(SKIP_1) | instid1(VALU_DEP_4)
	v_fma_f16 v157, v150, 0x2de8, -v153
	v_fmac_f16_e64 v153, 0x2de8, v150
	v_fma_f16 v161, v150, 0xb8d2, -v148
	v_fmac_f16_e64 v148, 0xb8d2, v150
	v_pk_mul_f16 v150, 0xbbdd, v150 op_sel_hi:[0,1]
	v_add_f16_e64 v212, v27, v157
	v_add_f16_e64 v200, v27, v153
	;; [unrolled: 1-line block ×4, first 2 shown]
	v_pk_fma_f16 v153, 0xb1e1, v203, v150 op_sel:[0,0,1] op_sel_hi:[0,1,0] neg_lo:[0,1,0] neg_hi:[0,1,0]
	v_pk_fma_f16 v150, 0xb1e1, v203, v150 op_sel:[0,0,1] op_sel_hi:[0,1,0]
	v_pk_mul_f16 v157, 0x3722b8d2, v31
	s_delay_alu instid0(VALU_DEP_3) | instskip(NEXT) | instid1(VALU_DEP_3)
	v_pk_add_f16 v228, v27, v153 op_sel:[1,0] op_sel_hi:[0,1]
	v_pk_add_f16 v229, v27, v150 op_sel:[1,0] op_sel_hi:[0,1]
	v_mul_f16_e64 v27, 0xb964, v206
	v_pk_mul_f16 v150, 0x39e92de8, v140
	v_fma_f16 v153, 0x2de8, v33, v181
	v_pk_fma_f16 v185, 0xba62bb29, v183, v157 op_sel:[0,0,1] op_sel_hi:[1,1,0]
	s_delay_alu instid0(VALU_DEP_4) | instskip(NEXT) | instid1(VALU_DEP_4)
	v_fma_f16 v148, v140, 0x39e9, -v27
	v_pk_fma_f16 v179, 0xbbf7b964, v184, v150 op_sel:[0,0,1] op_sel_hi:[1,1,0]
	v_fmac_f16_e64 v27, 0x39e9, v140
	s_delay_alu instid0(VALU_DEP_3) | instskip(SKIP_1) | instid1(VALU_DEP_3)
	v_add_f16_e64 v151, v148, v152
	v_pk_fma_f16 v148, 0xbbf7b964, v184, v150 op_sel:[0,0,1] op_sel_hi:[1,1,0] neg_lo:[0,1,0] neg_hi:[0,1,0]
	v_add_f16_e32 v27, v27, v30
	s_delay_alu instid0(VALU_DEP_2) | instskip(NEXT) | instid1(VALU_DEP_1)
	v_bfi_b32 v150, 0xffff, v179, v148
	v_pk_add_f16 v152, v150, v158
	v_fma_f16 v150, 0x39e9, v32, v182
	s_delay_alu instid0(VALU_DEP_1) | instskip(NEXT) | instid1(VALU_DEP_1)
	v_add_f16_e64 v150, v28, v150
	v_add_f16_e64 v153, v153, v150
	v_mul_f16_e64 v150, 0xbb29, v207
	s_delay_alu instid0(VALU_DEP_1) | instskip(SKIP_1) | instid1(VALU_DEP_2)
	v_fma_f16 v155, v31, 0x3722, -v150
	v_fmac_f16_e64 v150, 0x3722, v31
	v_add_f16_e64 v155, v155, v151
	v_pk_fma_f16 v151, 0xba62bb29, v183, v157 op_sel:[0,0,1] op_sel_hi:[1,1,0] neg_lo:[0,1,0] neg_hi:[0,1,0]
	s_delay_alu instid0(VALU_DEP_3) | instskip(SKIP_1) | instid1(VALU_DEP_3)
	v_add_f16_e64 v27, v150, v27
	v_pk_mul_f16 v150, 0xbbdd2de8, v111
	v_bfi_b32 v157, 0xffff, v185, v151
	s_delay_alu instid0(VALU_DEP_1) | instskip(SKIP_1) | instid1(VALU_DEP_1)
	v_pk_add_f16 v157, v157, v152
	v_fma_f16 v152, 0xb8d2, v34, v186
	v_add_f16_e64 v158, v152, v153
	v_mul_f16_e64 v152, 0xbbf7, v205
	s_delay_alu instid0(VALU_DEP_1) | instskip(SKIP_1) | instid1(VALU_DEP_2)
	v_fma_f16 v153, v139, 0x2de8, -v152
	v_fmac_f16_e64 v152, 0x2de8, v139
	v_add_f16_e64 v159, v153, v155
	v_pk_mul_f16 v155, 0x2de8bbdd, v139
	s_delay_alu instid0(VALU_DEP_3) | instskip(SKIP_1) | instid1(VALU_DEP_3)
	v_add_f16_e64 v27, v152, v27
	v_mul_f16_e64 v152, 0xbbf7, v106
	v_pk_fma_f16 v153, 0xb1e1bbf7, v156, v155 op_sel:[0,0,1] op_sel_hi:[1,1,0] neg_lo:[0,1,0] neg_hi:[0,1,0]
	v_pk_fma_f16 v187, 0xb1e1bbf7, v156, v155 op_sel:[0,0,1] op_sel_hi:[1,1,0]
	s_delay_alu instid0(VALU_DEP_1) | instskip(NEXT) | instid1(VALU_DEP_1)
	v_bfi_b32 v155, 0xffff, v187, v153
	v_pk_add_f16 v161, v155, v157
	v_fma_f16 v155, 0xbbdd, v141, v188
	s_delay_alu instid0(VALU_DEP_1) | instskip(SKIP_1) | instid1(VALU_DEP_1)
	v_add_f16_e64 v158, v155, v158
	v_mul_f16_e64 v155, 0xbbb2, v204
	v_fma_f16 v157, v138, 0xb461, -v155
	v_fmac_f16_e64 v155, 0xb461, v138
	s_delay_alu instid0(VALU_DEP_2) | instskip(SKIP_1) | instid1(VALU_DEP_3)
	v_add_f16_e64 v159, v157, v159
	v_pk_fma_f16 v157, 0x3836bbb2, v154, v162 op_sel:[0,0,1] op_sel_hi:[1,1,0] neg_lo:[0,1,0] neg_hi:[0,1,0]
	v_add_f16_e64 v27, v155, v27
	s_delay_alu instid0(VALU_DEP_2) | instskip(NEXT) | instid1(VALU_DEP_1)
	v_bfi_b32 v162, 0xffff, v189, v157
	v_pk_add_f16 v161, v162, v161
	v_fma_f16 v162, 0xbacd, v142, v190
	s_delay_alu instid0(VALU_DEP_1) | instskip(SKIP_1) | instid1(VALU_DEP_1)
	v_add_f16_e64 v162, v162, v158
	v_mul_f16_e64 v158, 0xba62, v202
	v_fma_f16 v163, v135, 0xb8d2, -v158
	v_fmac_f16_e64 v158, 0xb8d2, v135
	s_delay_alu instid0(VALU_DEP_2) | instskip(SKIP_1) | instid1(VALU_DEP_3)
	v_add_f16_e64 v163, v163, v159
	v_pk_fma_f16 v159, 0x3bb2ba62, v144, v164 op_sel:[0,0,1] op_sel_hi:[1,1,0] neg_lo:[0,1,0] neg_hi:[0,1,0]
	v_add_f16_e64 v27, v158, v27
	v_pk_mul_f16 v158, 0xbbb2b836, v106
	s_delay_alu instid0(VALU_DEP_3) | instskip(NEXT) | instid1(VALU_DEP_1)
	v_bfi_b32 v164, 0xffff, v191, v159
	v_pk_add_f16 v164, v164, v161
	v_fma_f16 v161, 0xb461, v143, v194
	s_delay_alu instid0(VALU_DEP_1) | instskip(SKIP_1) | instid1(VALU_DEP_1)
	v_add_f16_e64 v197, v161, v162
	v_mul_f16_e64 v161, 0xb836, v201
	v_fma_f16 v162, v134, 0xbacd, -v161
	v_fmac_f16_e64 v161, 0xbacd, v134
	s_delay_alu instid0(VALU_DEP_2) | instskip(SKIP_1) | instid1(VALU_DEP_3)
	v_add_f16_e64 v208, v162, v163
	v_pk_mul_f16 v163, 0xbacd3722, v134
	v_add_f16_e64 v27, v161, v27
	s_delay_alu instid0(VALU_DEP_2) | instskip(SKIP_1) | instid1(VALU_DEP_1)
	v_pk_fma_f16 v162, 0x3b29b836, v145, v163 op_sel:[0,0,1] op_sel_hi:[1,1,0] neg_lo:[0,1,0] neg_hi:[0,1,0]
	v_pk_fma_f16 v195, 0x3b29b836, v145, v163 op_sel:[0,0,1] op_sel_hi:[1,1,0]
	v_bfi_b32 v163, 0xffff, v195, v162
	s_delay_alu instid0(VALU_DEP_1) | instskip(SKIP_1) | instid1(VALU_DEP_1)
	v_pk_add_f16 v164, v163, v164
	v_fma_f16 v163, 0x3722, v147, v196
	v_add_f16_e64 v210, v163, v197
	v_pk_fma_f16 v163, 0x35c8b1e1, v149, v198 op_sel:[0,0,1] op_sel_hi:[1,1,0] neg_lo:[0,1,0] neg_hi:[0,1,0]
	v_pk_fma_f16 v197, 0x35c8b1e1, v149, v198 op_sel:[0,0,1] op_sel_hi:[1,1,0]
	s_delay_alu instid0(VALU_DEP_1) | instskip(NEXT) | instid1(VALU_DEP_1)
	v_bfi_b32 v197, 0xffff, v197, v163
	v_pk_add_f16 v230, v197, v164
	v_mul_f16_e64 v197, 0x35c8, v149
	s_delay_alu instid0(VALU_DEP_1) | instskip(NEXT) | instid1(VALU_DEP_1)
	v_fma_f16 v164, 0x3b76, v160, v197
	v_add_f16_e64 v231, v164, v210
	v_mul_f16_e64 v164, 0xb1e1, v222
	s_delay_alu instid0(VALU_DEP_2) | instskip(NEXT) | instid1(VALU_DEP_2)
	v_alignbit_b32 v231, v231, v230, 16
	v_fma_f16 v210, v29, 0xbbdd, -v164
	v_fmac_f16_e64 v164, 0xbbdd, v29
	s_delay_alu instid0(VALU_DEP_2) | instskip(SKIP_1) | instid1(VALU_DEP_3)
	v_add_f16_e64 v232, v210, v208
	v_mul_f16_e64 v208, 0xba62, v206
	v_add_f16_e64 v27, v164, v27
	s_delay_alu instid0(VALU_DEP_3) | instskip(NEXT) | instid1(VALU_DEP_3)
	v_pack_b32_f16 v230, v232, v230
	v_fma_f16 v210, v140, 0xb8d2, -v208
	v_fmac_f16_e64 v208, 0xb8d2, v140
	s_delay_alu instid0(VALU_DEP_2) | instskip(SKIP_2) | instid1(VALU_DEP_2)
	v_add_f16_e64 v213, v210, v209
	v_fma_f16 v209, 0x3722, v32, v211
	v_mul_f16_e64 v210, 0xba62, v184
	v_add_f16_e64 v209, v28, v209
	s_delay_alu instid0(VALU_DEP_2) | instskip(NEXT) | instid1(VALU_DEP_1)
	v_fma_f16 v214, 0xb8d2, v33, v210
	v_add_f16_e64 v214, v214, v209
	v_fma_f16 v209, v140, 0xbbdd, -v233
	v_fmac_f16_e64 v233, 0xbbdd, v140
	s_delay_alu instid0(VALU_DEP_2) | instskip(SKIP_1) | instid1(VALU_DEP_1)
	v_add_f16_e64 v212, v209, v212
	v_fma_f16 v209, 0x2de8, v32, v234
	v_add_f16_e64 v209, v28, v209
	s_delay_alu instid0(VALU_DEP_1) | instskip(SKIP_1) | instid1(VALU_DEP_1)
	v_add_f16_e64 v216, v215, v209
	v_mul_f16_e64 v209, 0x31e1, v207
	v_fma_f16 v215, v31, 0xbbdd, -v209
	v_fmac_f16_e64 v209, 0xbbdd, v31
	s_delay_alu instid0(VALU_DEP_2) | instskip(SKIP_1) | instid1(VALU_DEP_1)
	v_add_f16_e64 v213, v215, v213
	v_mul_f16_e64 v215, 0x31e1, v183
	v_fma_f16 v217, 0xbbdd, v34, v215
	s_delay_alu instid0(VALU_DEP_1) | instskip(SKIP_2) | instid1(VALU_DEP_2)
	v_add_f16_e64 v214, v217, v214
	v_fma_f16 v217, v31, 0xb461, -v236
	v_fmac_f16_e64 v236, 0xb461, v31
	v_add_f16_e64 v218, v217, v212
	v_fma_f16 v212, 0xb461, v34, v237
	s_delay_alu instid0(VALU_DEP_1) | instskip(SKIP_1) | instid1(VALU_DEP_1)
	v_add_f16_e64 v216, v212, v216
	v_mul_f16_e64 v212, 0x3bb2, v205
	v_fma_f16 v217, v139, 0xb461, -v212
	v_fmac_f16_e64 v212, 0xb461, v139
	s_delay_alu instid0(VALU_DEP_2) | instskip(SKIP_1) | instid1(VALU_DEP_1)
	v_add_f16_e64 v213, v217, v213
	v_mul_f16_e64 v217, 0x3bb2, v156
	v_fma_f16 v219, 0xb461, v141, v217
	s_delay_alu instid0(VALU_DEP_1) | instskip(SKIP_2) | instid1(VALU_DEP_2)
	v_add_f16_e64 v219, v219, v214
	v_fma_f16 v214, v139, 0x3b76, -v238
	v_fmac_f16_e64 v238, 0x3b76, v139
	v_add_f16_e64 v220, v214, v218
	v_fma_f16 v214, 0x3b76, v141, v239
	;; [unrolled: 15-line block ×3, first 2 shown]
	s_delay_alu instid0(VALU_DEP_1) | instskip(SKIP_1) | instid1(VALU_DEP_1)
	v_add_f16_e64 v216, v213, v216
	v_mul_f16_e64 v213, 0xb5c8, v202
	v_fma_f16 v220, v135, 0x3b76, -v213
	v_fmac_f16_e64 v213, 0x3b76, v135
	s_delay_alu instid0(VALU_DEP_2) | instskip(SKIP_1) | instid1(VALU_DEP_1)
	v_add_f16_e64 v221, v220, v221
	v_mul_f16_e64 v220, 0xb5c8, v144
	v_fma_f16 v242, 0x3b76, v143, v220
	s_delay_alu instid0(VALU_DEP_1) | instskip(SKIP_1) | instid1(VALU_DEP_1)
	v_add_f16_e64 v219, v242, v219
	v_mul_f16_e64 v242, 0xb836, v202
	v_fma_f16 v243, v135, 0xbacd, -v242
	v_fmac_f16_e64 v242, 0xbacd, v135
	s_delay_alu instid0(VALU_DEP_2) | instskip(SKIP_1) | instid1(VALU_DEP_1)
	v_add_f16_e64 v223, v243, v223
	v_mul_f16_e64 v243, 0xb836, v144
	v_fma_f16 v244, 0xbacd, v143, v243
	;; [unrolled: 9-line block ×3, first 2 shown]
	s_delay_alu instid0(VALU_DEP_1) | instskip(SKIP_2) | instid1(VALU_DEP_2)
	v_add_f16_e64 v246, v246, v219
	v_fma_f16 v219, v134, 0xb8d2, -v247
	v_fmac_f16_e64 v247, 0xb8d2, v134
	v_add_f16_e64 v223, v219, v223
	v_fma_f16 v219, 0xb8d2, v147, v248
	s_delay_alu instid0(VALU_DEP_1) | instskip(SKIP_1) | instid1(VALU_DEP_1)
	v_add_f16_e64 v244, v219, v244
	v_mul_f16_e64 v219, 0xb836, v222
	v_fma_f16 v249, v29, 0xbacd, -v219
	v_fmac_f16_e64 v219, 0xbacd, v29
	s_delay_alu instid0(VALU_DEP_2) | instskip(SKIP_1) | instid1(VALU_DEP_1)
	v_add_f16_e64 v245, v249, v245
	v_mul_f16_e64 v249, 0x3964, v222
	v_fma_f16 v250, v29, 0x39e9, -v249
	v_fmac_f16_e64 v249, 0x39e9, v29
	s_delay_alu instid0(VALU_DEP_2) | instskip(SKIP_1) | instid1(VALU_DEP_1)
	v_add_f16_e64 v250, v250, v223
	v_fma_f16 v223, 0x39e9, v160, v251
	v_add_f16_e64 v244, v223, v244
	v_mul_f16_e64 v223, 0xbacd, v160
	s_delay_alu instid0(VALU_DEP_2) | instskip(NEXT) | instid1(VALU_DEP_2)
	v_pack_b32_f16 v232, v250, v244
	v_fma_f16 v252, 0xb836, v149, v223
	s_delay_alu instid0(VALU_DEP_1) | instskip(SKIP_1) | instid1(VALU_DEP_2)
	v_add_f16_e64 v246, v252, v246
	v_mul_f16_e64 v252, 0x3bb2, v184
	v_pack_b32_f16 v244, v245, v246
	ds_store_2addr_b32 v107, v230, v231 offset0:1 offset1:2
	v_mul_f16_e64 v230, 0x3836, v206
	v_mul_f16_e64 v246, 0x3836, v184
	;; [unrolled: 1-line block ×3, first 2 shown]
	ds_store_2addr_b32 v107, v244, v232 offset0:3 offset1:4
	v_fma_f16 v253, 0xb461, v33, v252
	v_fma_f16 v231, v140, 0xbacd, -v230
	v_fma_f16 v250, 0xbacd, v33, v246
	v_fmac_f16_e64 v230, 0xbacd, v140
	s_delay_alu instid0(VALU_DEP_3) | instskip(SKIP_2) | instid1(VALU_DEP_2)
	v_add_f16_e64 v226, v231, v226
	v_mul_f16_e64 v231, 0xbbb2, v203
	v_mul_f16_e64 v203, 0xba62, v203
	v_fma_f16 v245, 0xb461, v32, v231
	s_delay_alu instid0(VALU_DEP_1) | instskip(NEXT) | instid1(VALU_DEP_1)
	v_add_f16_e64 v245, v28, v245
	v_add_f16_e64 v245, v250, v245
	v_fma_f16 v250, v140, 0xb461, -v206
	v_fmac_f16_e64 v206, 0xb461, v140
	s_delay_alu instid0(VALU_DEP_2) | instskip(SKIP_1) | instid1(VALU_DEP_1)
	v_add_f16_e64 v227, v250, v227
	v_fma_f16 v250, 0xb8d2, v32, v203
	v_add_f16_e64 v250, v28, v250
	s_delay_alu instid0(VALU_DEP_1) | instskip(SKIP_2) | instid1(VALU_DEP_2)
	v_add_f16_e64 v250, v253, v250
	v_mul_f16_e64 v253, 0x3964, v207
	v_mul_f16_e64 v207, 0xb5c8, v207
	v_fma_f16 v254, v31, 0x39e9, -v253
	v_fmac_f16_e64 v253, 0x39e9, v31
	s_delay_alu instid0(VALU_DEP_2) | instskip(SKIP_1) | instid1(VALU_DEP_1)
	v_add_f16_e64 v226, v254, v226
	v_mul_f16_e64 v254, 0x3964, v183
	v_fma_f16 v255, 0x39e9, v34, v254
	s_delay_alu instid0(VALU_DEP_1) | instskip(SKIP_2) | instid1(VALU_DEP_2)
	v_add_f16_e64 v245, v255, v245
	v_fma_f16 v255, v31, 0x3b76, -v207
	v_fmac_f16_e64 v207, 0x3b76, v31
	v_add_f16_e64 v227, v255, v227
	v_mul_f16_e64 v255, 0xb5c8, v183
	s_delay_alu instid0(VALU_DEP_1) | instskip(NEXT) | instid1(VALU_DEP_1)
	v_fma_f16 v66, 0x3b76, v34, v255
	v_add_f16_e64 v66, v66, v250
	v_mul_f16_e64 v250, 0xbb29, v205
	v_mul_f16_e64 v205, 0xb836, v205
	s_delay_alu instid0(VALU_DEP_2) | instskip(SKIP_1) | instid1(VALU_DEP_2)
	v_fma_f16 v67, v139, 0x3722, -v250
	v_fmac_f16_e64 v250, 0x3722, v139
	v_add_f16_e64 v67, v67, v226
	v_mul_f16_e64 v226, 0xbb29, v156
	s_delay_alu instid0(VALU_DEP_1) | instskip(NEXT) | instid1(VALU_DEP_1)
	v_fma_f16 v68, 0x3722, v141, v226
	v_add_f16_e64 v68, v68, v245
	v_fma_f16 v245, v139, 0xbacd, -v205
	v_fmac_f16_e64 v205, 0xbacd, v139
	s_delay_alu instid0(VALU_DEP_2) | instskip(SKIP_1) | instid1(VALU_DEP_1)
	v_add_f16_e64 v227, v245, v227
	v_mul_f16_e64 v245, 0xb836, v156
	v_fma_f16 v69, 0xbacd, v141, v245
	s_delay_alu instid0(VALU_DEP_1) | instskip(SKIP_1) | instid1(VALU_DEP_1)
	v_add_f16_e32 v66, v69, v66
	v_mul_f16_e64 v69, 0xb1e1, v204
	v_fma_f16 v72, v138, 0xbbdd, -v69
	v_fmac_f16_e64 v69, 0xbbdd, v138
	s_delay_alu instid0(VALU_DEP_2) | instskip(SKIP_1) | instid1(VALU_DEP_1)
	v_add_f16_e32 v67, v72, v67
	v_mul_f16_e64 v72, 0xb1e1, v154
	v_fma_f16 v73, 0xbbdd, v142, v72
	v_fma_f16 v72, v142, 0xbbdd, -v72
	s_delay_alu instid0(VALU_DEP_2) | instskip(SKIP_1) | instid1(VALU_DEP_1)
	v_add_f16_e32 v68, v73, v68
	v_mul_f16_e64 v73, 0x3bf7, v204
	v_fma_f16 v204, v138, 0x2de8, -v73
	v_fmac_f16_e64 v73, 0x2de8, v138
	s_delay_alu instid0(VALU_DEP_2) | instskip(SKIP_1) | instid1(VALU_DEP_1)
	v_add_f16_e64 v204, v204, v227
	v_mul_f16_e64 v227, 0x3bf7, v154
	v_fma_f16 v75, 0x2de8, v142, v227
	s_delay_alu instid0(VALU_DEP_1) | instskip(SKIP_1) | instid1(VALU_DEP_1)
	v_add_f16_e32 v66, v75, v66
	v_mul_f16_e64 v75, 0x3bf7, v202
	v_fma_f16 v77, v135, 0x2de8, -v75
	v_fmac_f16_e64 v75, 0x2de8, v135
	s_delay_alu instid0(VALU_DEP_2) | instskip(SKIP_1) | instid1(VALU_DEP_1)
	v_add_f16_e32 v67, v77, v67
	v_mul_f16_e64 v77, 0x3bf7, v144
	v_fma_f16 v80, 0x2de8, v143, v77
	s_delay_alu instid0(VALU_DEP_1) | instskip(SKIP_1) | instid1(VALU_DEP_1)
	v_add_f16_e32 v68, v80, v68
	v_mul_f16_e64 v80, 0xb964, v202
	v_fma_f16 v202, v135, 0x39e9, -v80
	v_fmac_f16_e64 v80, 0x39e9, v135
	s_delay_alu instid0(VALU_DEP_2) | instskip(SKIP_1) | instid1(VALU_DEP_1)
	v_add_f16_e64 v202, v202, v204
	v_mul_f16_e64 v204, 0xb964, v144
	v_fma_f16 v82, 0x39e9, v143, v204
	s_delay_alu instid0(VALU_DEP_1) | instskip(SKIP_1) | instid1(VALU_DEP_1)
	v_add_f16_e32 v66, v82, v66
	v_mul_f16_e64 v82, 0xb5c8, v201
	v_fma_f16 v84, v134, 0x3b76, -v82
	v_fmac_f16_e64 v82, 0x3b76, v134
	s_delay_alu instid0(VALU_DEP_2) | instskip(SKIP_1) | instid1(VALU_DEP_1)
	v_add_f16_e32 v67, v84, v67
	v_mul_f16_e64 v84, 0xb5c8, v145
	v_fma_f16 v86, 0x3b76, v147, v84
	s_delay_alu instid0(VALU_DEP_1) | instskip(SKIP_1) | instid1(VALU_DEP_1)
	v_add_f16_e32 v68, v86, v68
	v_mul_f16_e64 v86, 0xb1e1, v201
	v_fma_f16 v201, v134, 0xbbdd, -v86
	v_fmac_f16_e64 v86, 0xbbdd, v134
	s_delay_alu instid0(VALU_DEP_2) | instskip(SKIP_1) | instid1(VALU_DEP_1)
	v_add_f16_e64 v201, v201, v202
	v_mul_f16_e64 v202, 0xb1e1, v145
	v_fma_f16 v88, 0xbbdd, v147, v202
	s_delay_alu instid0(VALU_DEP_1) | instskip(SKIP_1) | instid1(VALU_DEP_1)
	v_add_f16_e32 v66, v88, v66
	v_mul_f16_e64 v88, 0xba62, v222
	v_fma_f16 v90, v29, 0xb8d2, -v88
	v_fmac_f16_e32 v88, 0xb8d2, v29
	s_delay_alu instid0(VALU_DEP_2) | instskip(SKIP_1) | instid1(VALU_DEP_1)
	v_add_f16_e32 v67, v90, v67
	v_mul_f16_e64 v90, 0x3b29, v222
	v_fma_f16 v222, v29, 0x3722, -v90
	v_fmac_f16_e32 v90, 0x3722, v29
	s_delay_alu instid0(VALU_DEP_2) | instskip(SKIP_1) | instid1(VALU_DEP_1)
	v_add_f16_e64 v201, v222, v201
	v_mul_f16_e64 v222, 0x3b29, v149
	v_fma_f16 v92, 0x3722, v160, v222
	s_delay_alu instid0(VALU_DEP_1) | instskip(SKIP_1) | instid1(VALU_DEP_2)
	v_add_f16_e32 v66, v92, v66
	v_mul_f16_e64 v92, 0xba62, v149
	v_pack_b32_f16 v66, v201, v66
	s_delay_alu instid0(VALU_DEP_2) | instskip(NEXT) | instid1(VALU_DEP_1)
	v_fma_f16 v94, 0xb8d2, v160, v92
	v_add_f16_e32 v68, v94, v68
	s_delay_alu instid0(VALU_DEP_1) | instskip(SKIP_2) | instid1(VALU_DEP_2)
	v_pack_b32_f16 v67, v67, v68
	v_pk_mul_f16 v68, 0x3b76, v140 op_sel_hi:[0,1]
	v_mul_f16_e64 v140, 0x3b29, v106
	v_pk_fma_f16 v94, 0x35c8, v184, v68 op_sel:[0,0,1] op_sel_hi:[0,1,0] neg_lo:[0,1,0] neg_hi:[0,1,0]
	v_pk_fma_f16 v68, 0x35c8, v184, v68 op_sel:[0,0,1] op_sel_hi:[0,1,0]
	v_pk_mul_f16 v184, 0xbacd, v31 op_sel_hi:[0,1]
	s_delay_alu instid0(VALU_DEP_3) | instskip(NEXT) | instid1(VALU_DEP_3)
	v_pk_add_f16 v94, v94, v228
	v_pk_add_f16 v68, v68, v229
	s_delay_alu instid0(VALU_DEP_3) | instskip(SKIP_1) | instid1(VALU_DEP_2)
	v_pk_fma_f16 v201, 0xb836, v183, v184 op_sel:[0,0,1] op_sel_hi:[0,1,0] neg_lo:[0,1,0] neg_hi:[0,1,0]
	v_pk_fma_f16 v183, 0xb836, v183, v184 op_sel:[0,0,1] op_sel_hi:[0,1,0]
	v_pk_add_f16 v94, v201, v94
	s_delay_alu instid0(VALU_DEP_2) | instskip(SKIP_2) | instid1(VALU_DEP_2)
	v_pk_add_f16 v68, v183, v68
	v_pk_mul_f16 v183, 0x39e9, v139 op_sel_hi:[0,1]
	v_mul_f16_e64 v139, 0x3964, v116
	v_pk_fma_f16 v184, 0x3964, v156, v183 op_sel:[0,0,1] op_sel_hi:[0,1,0] neg_lo:[0,1,0] neg_hi:[0,1,0]
	v_pk_fma_f16 v156, 0x3964, v156, v183 op_sel:[0,0,1] op_sel_hi:[0,1,0]
	s_delay_alu instid0(VALU_DEP_2) | instskip(NEXT) | instid1(VALU_DEP_2)
	v_pk_add_f16 v94, v184, v94
	v_pk_add_f16 v68, v156, v68
	v_pk_mul_f16 v156, 0xb8d2, v138 op_sel_hi:[0,1]
	v_lshrrev_b32_e32 v138, 16, v123
	s_delay_alu instid0(VALU_DEP_2) | instskip(SKIP_1) | instid1(VALU_DEP_2)
	v_pk_fma_f16 v183, 0xba62, v154, v156 op_sel:[0,0,1] op_sel_hi:[0,1,0] neg_lo:[0,1,0] neg_hi:[0,1,0]
	v_pk_fma_f16 v154, 0xba62, v154, v156 op_sel:[0,0,1] op_sel_hi:[0,1,0]
	v_pk_add_f16 v94, v183, v94
	s_delay_alu instid0(VALU_DEP_2) | instskip(SKIP_2) | instid1(VALU_DEP_2)
	v_pk_add_f16 v68, v154, v68
	v_pk_mul_f16 v154, 0x3722, v135 op_sel_hi:[0,1]
	v_lshrrev_b32_e32 v135, 16, v112
	v_pk_fma_f16 v156, 0x3b29, v144, v154 op_sel:[0,0,1] op_sel_hi:[0,1,0] neg_lo:[0,1,0] neg_hi:[0,1,0]
	v_pk_fma_f16 v144, 0x3b29, v144, v154 op_sel:[0,0,1] op_sel_hi:[0,1,0]
	s_delay_alu instid0(VALU_DEP_2) | instskip(NEXT) | instid1(VALU_DEP_2)
	v_pk_add_f16 v94, v156, v94
	v_pk_add_f16 v68, v144, v68
	v_pk_mul_f16 v144, 0xb461, v134 op_sel_hi:[0,1]
	v_mul_f16_e64 v156, 0xb836, v44
	s_delay_alu instid0(VALU_DEP_2) | instskip(SKIP_1) | instid1(VALU_DEP_2)
	v_pk_fma_f16 v154, 0xbbb2, v145, v144 op_sel:[0,0,1] op_sel_hi:[0,1,0] neg_lo:[0,1,0] neg_hi:[0,1,0]
	v_pk_fma_f16 v144, 0xbbb2, v145, v144 op_sel:[0,0,1] op_sel_hi:[0,1,0]
	v_pk_add_f16 v94, v154, v94
	s_delay_alu instid0(VALU_DEP_2) | instskip(SKIP_3) | instid1(VALU_DEP_3)
	v_pk_add_f16 v68, v144, v68
	v_pk_mul_f16 v144, 0x2de8, v29 op_sel_hi:[0,1]
	v_mul_f16_e64 v29, 0xb964, v128
	v_lshrrev_b32_e32 v154, 16, v125
	v_pk_fma_f16 v145, 0x3bf7, v149, v144 op_sel:[0,0,1] op_sel_hi:[0,1,0] neg_lo:[0,1,0] neg_hi:[0,1,0]
	v_pk_fma_f16 v144, 0x3bf7, v149, v144 op_sel:[0,0,1] op_sel_hi:[0,1,0]
	s_delay_alu instid0(VALU_DEP_2) | instskip(NEXT) | instid1(VALU_DEP_2)
	v_pk_add_f16 v94, v145, v94
	v_pk_add_f16 v68, v144, v68
	v_pk_mul_f16 v145, 0x3722bacd, v112
	s_delay_alu instid0(VALU_DEP_2)
	v_alignbit_b32 v144, v94, v68, 16
	v_alignbit_b32 v68, v68, v94, 16
	ds_store_2addr_b32 v107, v67, v66 offset0:5 offset1:6
	ds_store_2addr_b32 v107, v68, v144 offset0:8 offset1:9
	v_fma_f16 v67, v32, 0xb8d2, -v203
	v_fma_f16 v94, v32, 0xbacd, -v176
	v_fma_f16 v68, v33, 0xb461, -v252
	v_fma_f16 v144, v33, 0x3722, -v177
	v_add_f16_e64 v66, v206, v225
	v_add_f16_e32 v67, v28, v67
	v_add_f16_e32 v94, v28, v94
	s_delay_alu instid0(VALU_DEP_3) | instskip(NEXT) | instid1(VALU_DEP_3)
	v_add_f16_e64 v66, v207, v66
	v_add_f16_e32 v67, v68, v67
	s_delay_alu instid0(VALU_DEP_3) | instskip(SKIP_3) | instid1(VALU_DEP_3)
	v_add_f16_e64 v94, v144, v94
	v_fma_f16 v144, v34, 0x3b76, -v255
	v_add_f16_e64 v68, v174, v224
	v_add_f16_e64 v66, v205, v66
	;; [unrolled: 1-line block ×3, first 2 shown]
	v_fma_f16 v144, v34, 0x2de8, -v175
	s_delay_alu instid0(VALU_DEP_3) | instskip(SKIP_2) | instid1(VALU_DEP_4)
	v_add_f16_e32 v66, v73, v66
	v_fma_f16 v73, v142, 0x2de8, -v227
	v_add_f16_e64 v68, v173, v68
	v_add_f16_e64 v94, v144, v94
	v_fma_f16 v144, v141, 0xbacd, -v245
	v_add_f16_e32 v66, v80, v66
	v_fma_f16 v80, v143, 0x39e9, -v204
	v_add_f16_e64 v68, v170, v68
	s_delay_alu instid0(VALU_DEP_4)
	v_add_f16_e64 v67, v144, v67
	v_fma_f16 v144, v141, 0xb8d2, -v171
	v_add_f16_e32 v66, v86, v66
	v_fma_f16 v86, v33, 0xbbdd, -v235
	v_add_f16_e64 v68, v167, v68
	v_add_f16_e32 v67, v73, v67
	v_add_f16_e64 v94, v144, v94
	v_fma_f16 v73, v142, 0x3b76, -v168
	v_add_f16_e32 v66, v90, v66
	v_fma_f16 v90, v32, 0xb461, -v231
	v_add_f16_e32 v67, v80, v67
	v_fma_f16 v80, v143, 0xbbdd, -v166
	v_add_f16_e32 v73, v73, v94
	v_fma_f16 v94, v33, 0xbacd, -v246
	v_add_f16_e32 v90, v28, v90
	v_add_f16_e64 v68, v165, v68
	v_pk_mul_f16 v144, 0xba62bbb2, v116
	v_add_f16_e32 v73, v80, v73
	v_fma_f16 v80, v147, 0xbbdd, -v202
	v_add_f16_e32 v90, v94, v90
	v_fma_f16 v94, v34, 0xb461, -v237
	v_add_f16_e64 v68, v178, v68
	s_delay_alu instid0(VALU_DEP_4) | instskip(SKIP_1) | instid1(VALU_DEP_3)
	v_add_f16_e32 v67, v80, v67
	v_fma_f16 v80, v147, 0x39e9, -v180
	v_add_f16_e64 v68, v192, v68
	s_delay_alu instid0(VALU_DEP_2) | instskip(SKIP_1) | instid1(VALU_DEP_1)
	v_add_f16_e32 v73, v80, v73
	v_fma_f16 v80, v160, 0x3722, -v222
	v_add_f16_e32 v67, v80, v67
	v_fma_f16 v80, v160, 0xb461, -v193
	s_delay_alu instid0(VALU_DEP_2) | instskip(NEXT) | instid1(VALU_DEP_2)
	v_pack_b32_f16 v66, v66, v67
	v_add_f16_e32 v73, v80, v73
	v_fma_f16 v80, v32, 0x2de8, -v234
	v_add_f16_e64 v67, v233, v200
	s_delay_alu instid0(VALU_DEP_3) | instskip(NEXT) | instid1(VALU_DEP_3)
	v_pack_b32_f16 v68, v68, v73
	v_add_f16_e32 v80, v28, v80
	s_delay_alu instid0(VALU_DEP_3) | instskip(SKIP_1) | instid1(VALU_DEP_3)
	v_add_f16_e64 v67, v236, v67
	v_pk_mul_f16 v73, 0x35c8b1e1, v149
	v_add_f16_e32 v80, v86, v80
	v_add_f16_e64 v86, v230, v199
	s_delay_alu instid0(VALU_DEP_4) | instskip(NEXT) | instid1(VALU_DEP_3)
	v_add_f16_e64 v67, v238, v67
	v_add_f16_e32 v80, v94, v80
	v_fma_f16 v94, v34, 0x39e9, -v254
	s_delay_alu instid0(VALU_DEP_4) | instskip(NEXT) | instid1(VALU_DEP_4)
	v_add_f16_e64 v86, v253, v86
	v_add_f16_e64 v67, v240, v67
	s_delay_alu instid0(VALU_DEP_3) | instskip(SKIP_1) | instid1(VALU_DEP_4)
	v_add_f16_e32 v90, v94, v90
	v_fma_f16 v94, v141, 0x3b76, -v239
	v_add_f16_e64 v86, v250, v86
	s_delay_alu instid0(VALU_DEP_4) | instskip(NEXT) | instid1(VALU_DEP_3)
	v_add_f16_e64 v67, v242, v67
	v_add_f16_e32 v80, v94, v80
	v_fma_f16 v94, v141, 0x3722, -v226
	s_delay_alu instid0(VALU_DEP_4) | instskip(SKIP_2) | instid1(VALU_DEP_4)
	v_add_f16_e32 v69, v69, v86
	v_fma_f16 v86, v143, 0xbacd, -v243
	v_add_f16_e64 v67, v247, v67
	v_add_f16_e32 v90, v94, v90
	v_fma_f16 v94, v142, 0x3722, -v241
	v_add_f16_e32 v69, v75, v69
	v_fma_f16 v75, v143, 0x2de8, -v77
	v_fma_f16 v77, v147, 0x3b76, -v84
	v_add_f16_e32 v72, v72, v90
	v_add_f16_e32 v80, v94, v80
	v_add_f16_e32 v69, v82, v69
	v_add_f16_e64 v67, v249, v67
	v_mul_f16_e64 v82, 0x3bb2, v129
	v_add_f16_e32 v72, v75, v72
	v_add_f16_e32 v80, v86, v80
	v_fma_f16 v75, v147, 0xb8d2, -v248
	v_add_f16_e32 v69, v88, v69
	s_delay_alu instid0(VALU_DEP_4) | instskip(SKIP_1) | instid1(VALU_DEP_4)
	v_add_f16_e32 v72, v77, v72
	v_fma_f16 v77, v160, 0x39e9, -v251
	v_add_f16_e32 v75, v75, v80
	s_delay_alu instid0(VALU_DEP_1) | instskip(SKIP_2) | instid1(VALU_DEP_3)
	v_add_f16_e32 v75, v77, v75
	v_fma_f16 v77, v160, 0xb8d2, -v92
	v_mul_f16_e64 v92, 0x3b29, v129
	v_pack_b32_f16 v67, v67, v75
	s_delay_alu instid0(VALU_DEP_3) | instskip(SKIP_1) | instid1(VALU_DEP_2)
	v_add_f16_e32 v72, v77, v72
	v_mul_f16_e64 v77, 0x3836, v129
	v_pack_b32_f16 v69, v69, v72
	ds_store_2addr_b32 v107, v68, v66 offset0:10 offset1:11
	v_fma_f16 v66, v32, 0x39e9, -v182
	v_fma_f16 v32, v32, 0x3722, -v211
	;; [unrolled: 1-line block ×4, first 2 shown]
	v_pk_add_f16 v68, v179, v172
	v_add_f16_e32 v66, v28, v66
	v_add_f16_e32 v32, v28, v32
	v_add_f16_e64 v28, v28, v146
	v_pk_mul_f16 v146, 0xb8d23722, v125
	v_pk_add_f16 v68, v185, v68
	v_add_f16_e32 v66, v72, v66
	v_add_f16_e32 v32, v33, v32
	v_fma_f16 v33, v34, 0xb8d2, -v186
	v_fma_f16 v34, v34, 0xbbdd, -v215
	v_add_f16_e64 v72, v208, v169
	v_pk_add_f16 v68, v187, v68
	v_add_f16_e64 v28, v148, v28
	v_add_f16_e32 v33, v33, v66
	v_add_f16_e32 v32, v34, v32
	v_fma_f16 v66, v141, 0xb461, -v217
	v_fma_f16 v34, v141, 0xbbdd, -v188
	v_add_f16_e64 v72, v209, v72
	v_pk_add_f16 v68, v189, v68
	v_add_f16_e64 v28, v151, v28
	v_add_f16_e32 v32, v66, v32
	v_fma_f16 v66, v142, 0x39e9, -v218
	v_add_f16_e32 v33, v34, v33
	v_fma_f16 v34, v142, 0xbacd, -v190
	v_add_f16_e64 v72, v212, v72
	v_pk_add_f16 v68, v191, v68
	v_add_f16_e32 v32, v66, v32
	v_fma_f16 v66, v143, 0x3b76, -v220
	v_add_f16_e32 v33, v34, v33
	v_fma_f16 v34, v143, 0xb461, -v194
	v_add_f16_e64 v72, v214, v72
	v_add_f16_e64 v28, v153, v28
	v_add_f16_e32 v32, v66, v32
	v_fma_f16 v66, v147, 0x3722, -v196
	v_add_f16_e32 v33, v34, v33
	v_fma_f16 v34, v147, 0x2de8, -v221
	v_add_f16_e64 v72, v213, v72
	v_bfi_b32 v32, 0xffff, v32, v73
	v_mul_f16_e64 v73, 0xb836, v149
	v_add_f16_e64 v28, v157, v28
	v_pack_b32_f16 v34, v34, v198
	v_add_f16_e32 v33, v66, v33
	v_fma_f16 v66, v160, 0x3b76, -v197
	v_bfi_b32 v73, 0xffff, v73, v68
	v_pk_add_f16 v68, v195, v68
	v_pk_add_f16 v32, v34, v32
	v_add_f16_e64 v28, v159, v28
	v_add_f16_e32 v33, v66, v33
	v_pk_add_f16 v73, v223, v73 neg_lo:[0,1] neg_hi:[0,1]
	v_lshrrev_b32_e32 v147, 16, v124
	v_mul_f16_e64 v148, 0xb5c8, v114
	v_add_f16_e64 v28, v162, v28
	v_pk_mul_f16 v153, 0x3b29ba62, v114
	v_bfi_b32 v34, 0xffff, v73, v68
	v_add_f16_e64 v68, v216, v72
	v_mul_f16_e64 v73, 0xb1e1, v129
	v_add_f16_e64 v28, v163, v28
	v_lshrrev_b32_e32 v157, 16, v110
	v_pk_add_f16 v32, v34, v32
	v_add_f16_e64 v34, v219, v68
	v_lshrrev_b32_e32 v159, 16, v111
	v_pack_b32_f16 v66, v27, v28
	v_lshrrev_b32_e32 v27, 16, v0
	v_alignbit_b32 v33, v33, v32, 16
	v_pack_b32_f16 v32, v34, v32
	ds_store_2addr_b32 v107, v69, v67 offset0:12 offset1:13
	v_lshrrev_b32_e32 v34, 16, v108
	v_mul_f16_e64 v141, 0x35c8, v44
	v_pk_mul_f16 v142, 0x39e93b76, v108
	ds_store_2addr_b32 v107, v32, v33 offset0:14 offset1:15
	ds_store_b32 v107, v66 offset:64
	v_lshrrev_b32_e32 v33, 16, v57
	v_fmamk_f16 v75, v34, 0xbbdd, v73
	v_fma_f16 v73, v34, 0xbbdd, -v73
	v_fmamk_f16 v80, v34, 0xbacd, v77
	v_fma_f16 v77, v34, 0xbacd, -v77
	v_fma_f16 v28, v33, 0x39e9, -v29
	v_fmamk_f16 v84, v34, 0xb461, v82
	v_fma_f16 v82, v34, 0xb461, -v82
	v_fmamk_f16 v94, v34, 0x3722, v92
	v_pk_mul_f16 v151, 0x2de839e9, v123
	v_add_f16_e32 v30, v28, v27
	v_mul_f16_e64 v28, 0xbbf7, v129
	v_pk_mul_f16 v143, 0xb461b8d2, v124
	v_pk_mul_f16 v149, 0xbacdb461, v110
	;; [unrolled: 1-line block ×3, first 2 shown]
	v_add_co_u32 v66, null, v96, 17
	v_fma_f16 v31, v34, 0x2de8, -v28
	s_delay_alu instid0(VALU_DEP_2) | instskip(NEXT) | instid1(VALU_DEP_2)
	v_mul_u32_u24_e32 v71, 17, v66
	v_add_f16_e32 v67, v31, v30
	v_mul_f16_e64 v31, 0xbb29, v128
	s_delay_alu instid0(VALU_DEP_1) | instskip(NEXT) | instid1(VALU_DEP_1)
	v_fma_f16 v30, v33, 0x3722, -v31
	v_add_f16_e32 v32, v30, v27
	v_mul_f16_e64 v30, 0xba62, v129
	s_delay_alu instid0(VALU_DEP_1) | instskip(NEXT) | instid1(VALU_DEP_1)
	v_fma_f16 v68, v34, 0xb8d2, -v30
	v_add_f16_e32 v68, v68, v32
	v_add_f16_e64 v32, v136, v0
	s_delay_alu instid0(VALU_DEP_1) | instskip(SKIP_1) | instid1(VALU_DEP_2)
	v_add_f16_e64 v69, v137, v32
	v_mul_f16_e64 v32, 0xbbf7, v128
	v_add_f16_e64 v69, v133, v69
	s_delay_alu instid0(VALU_DEP_2) | instskip(SKIP_2) | instid1(VALU_DEP_4)
	v_fmamk_f16 v72, v33, 0x2de8, v32
	v_fma_f16 v32, v33, 0x2de8, -v32
	v_mul_f16_e64 v133, 0x3bb2, v122
	v_add_f16_e64 v69, v130, v69
	s_delay_alu instid0(VALU_DEP_4) | instskip(NEXT) | instid1(VALU_DEP_4)
	v_add_f16_e32 v72, v72, v27
	v_add_f16_e32 v32, v32, v27
	v_mul_f16_e64 v130, 0x35c8, v119
	s_delay_alu instid0(VALU_DEP_4) | instskip(NEXT) | instid1(VALU_DEP_4)
	v_add_f16_e32 v69, v126, v69
	v_add_f16_e32 v72, v75, v72
	s_delay_alu instid0(VALU_DEP_4) | instskip(SKIP_3) | instid1(VALU_DEP_3)
	v_add_f16_e32 v73, v73, v32
	v_mul_f16_e64 v32, 0xbbb2, v128
	v_mul_f16_e32 v126, 0xbb29, v116
	v_add_f16_e32 v69, v120, v69
	v_fmamk_f16 v75, v33, 0xb461, v32
	v_fma_f16 v32, v33, 0xb461, -v32
	s_delay_alu instid0(VALU_DEP_3) | instskip(NEXT) | instid1(VALU_DEP_3)
	v_add_f16_e32 v69, v117, v69
	v_add_f16_e32 v75, v75, v27
	s_delay_alu instid0(VALU_DEP_3) | instskip(NEXT) | instid1(VALU_DEP_3)
	v_add_f16_e32 v32, v32, v27
	v_add_f16_e32 v46, v46, v69
	;; [unrolled: 3-line block ×3, first 2 shown]
	v_mul_f16_e64 v32, 0xba62, v128
	s_delay_alu instid0(VALU_DEP_1) | instskip(SKIP_1) | instid1(VALU_DEP_2)
	v_fmamk_f16 v80, v33, 0xb8d2, v32
	v_fma_f16 v32, v33, 0xb8d2, -v32
	v_add_f16_e32 v80, v80, v27
	s_delay_alu instid0(VALU_DEP_2) | instskip(NEXT) | instid1(VALU_DEP_2)
	v_add_f16_e32 v32, v32, v27
	v_add_f16_e32 v80, v84, v80
	s_delay_alu instid0(VALU_DEP_2) | instskip(SKIP_4) | instid1(VALU_DEP_4)
	v_add_f16_e32 v82, v82, v32
	v_mul_f16_e64 v32, 0xb836, v131
	v_mul_f16_e64 v84, 0x3b29, v132
	v_pk_mul_f16 v131, 0xb1e1b5c8, v128
	v_pk_mul_f16 v132, 0x35c8b964, v129
	v_fma_f16 v86, v57, 0xbacd, -v32
	s_delay_alu instid0(VALU_DEP_4) | instskip(SKIP_2) | instid1(VALU_DEP_4)
	v_fma_f16 v88, v108, 0x3722, -v84
	v_fmac_f16_e32 v32, 0xbacd, v57
	v_fmac_f16_e32 v84, 0x3722, v108
	v_add_f16_e32 v86, v86, v0
	s_delay_alu instid0(VALU_DEP_3) | instskip(NEXT) | instid1(VALU_DEP_2)
	v_add_f16_e32 v32, v32, v0
	v_add_f16_e32 v86, v88, v86
	v_mul_f16_e64 v88, 0xb836, v128
	s_delay_alu instid0(VALU_DEP_3) | instskip(NEXT) | instid1(VALU_DEP_2)
	v_add_f16_e32 v84, v84, v32
	v_fma_f16 v32, v33, 0xbacd, -v88
	v_fmamk_f16 v90, v33, 0xbacd, v88
	v_fma_f16 v88, v34, 0x3722, -v92
	v_pk_fma_f16 v92, 0x39e93b76, v108, v132 op_sel:[0,0,1] op_sel_hi:[1,1,0] neg_lo:[0,0,1] neg_hi:[0,0,1]
	s_delay_alu instid0(VALU_DEP_4) | instskip(NEXT) | instid1(VALU_DEP_4)
	v_add_f16_e32 v32, v32, v27
	v_add_f16_e32 v90, v90, v27
	s_delay_alu instid0(VALU_DEP_2) | instskip(SKIP_1) | instid1(VALU_DEP_3)
	v_add_f16_e32 v88, v88, v32
	v_pk_fma_f16 v32, 0x3b76bbdd, v57, v131 op_sel:[0,0,1] op_sel_hi:[1,1,0] neg_lo:[0,0,1] neg_hi:[0,0,1]
	v_add_f16_e32 v90, v94, v90
	v_mul_f16_e64 v94, 0xb1e1, v128
	v_mul_f16_e64 v128, 0x35c8, v129
	s_delay_alu instid0(VALU_DEP_4) | instskip(NEXT) | instid1(VALU_DEP_2)
	v_pk_add_f16 v32, v32, v0
	v_fma_f16 v129, v34, 0x3b76, -v128
	s_delay_alu instid0(VALU_DEP_2) | instskip(SKIP_1) | instid1(VALU_DEP_1)
	v_pk_add_f16 v92, v92, v32
	v_fma_f16 v32, v33, 0xbbdd, -v94
	v_add_f16_e32 v32, v32, v27
	s_delay_alu instid0(VALU_DEP_1) | instskip(SKIP_1) | instid1(VALU_DEP_1)
	v_add_f16_e64 v129, v129, v32
	v_mul_f16_e32 v32, 0xba62, v122
	v_fma_f16 v134, v135, 0xb8d2, -v32
	s_delay_alu instid0(VALU_DEP_1) | instskip(SKIP_1) | instid1(VALU_DEP_1)
	v_add_f16_e64 v67, v134, v67
	v_mul_f16_e64 v134, 0x31e1, v122
	v_fma_f16 v136, v135, 0xbbdd, -v134
	s_delay_alu instid0(VALU_DEP_1) | instskip(SKIP_2) | instid1(VALU_DEP_2)
	v_add_f16_e64 v68, v136, v68
	v_fma_f16 v136, 0xb461, v135, v133
	v_fma_f16 v133, v135, 0xb461, -v133
	v_add_f16_e64 v72, v136, v72
	s_delay_alu instid0(VALU_DEP_2) | instskip(SKIP_1) | instid1(VALU_DEP_1)
	v_add_f16_e64 v73, v133, v73
	v_mul_f16_e64 v133, 0x3964, v122
	v_fma_f16 v136, 0x39e9, v135, v133
	v_fma_f16 v133, v135, 0x39e9, -v133
	s_delay_alu instid0(VALU_DEP_2) | instskip(NEXT) | instid1(VALU_DEP_2)
	v_add_f16_e64 v75, v136, v75
	v_add_f16_e64 v77, v133, v77
	v_mul_f16_e64 v133, 0xb5c8, v122
	s_delay_alu instid0(VALU_DEP_1) | instskip(SKIP_1) | instid1(VALU_DEP_2)
	v_fma_f16 v136, 0x3b76, v135, v133
	v_fma_f16 v133, v135, 0x3b76, -v133
	v_add_f16_e64 v80, v136, v80
	s_delay_alu instid0(VALU_DEP_2) | instskip(SKIP_2) | instid1(VALU_DEP_2)
	v_add_f16_e64 v82, v133, v82
	v_fma_f16 v133, v112, 0x2de8, -v127
	v_fmac_f16_e32 v127, 0x2de8, v112
	v_add_f16_e64 v86, v133, v86
	v_mul_f16_e64 v133, 0xbbf7, v122
	s_delay_alu instid0(VALU_DEP_3) | instskip(NEXT) | instid1(VALU_DEP_2)
	v_add_f16_e32 v84, v127, v84
	v_fma_f16 v136, 0x2de8, v135, v133
	v_fma_f16 v127, v135, 0x2de8, -v133
	v_pk_mul_f16 v133, 0xb836bb29, v122
	v_mul_f16_e32 v122, 0xb836, v122
	s_delay_alu instid0(VALU_DEP_4) | instskip(NEXT) | instid1(VALU_DEP_4)
	v_add_f16_e64 v90, v136, v90
	v_add_f16_e32 v88, v127, v88
	s_delay_alu instid0(VALU_DEP_4) | instskip(NEXT) | instid1(VALU_DEP_1)
	v_pk_fma_f16 v127, 0x3722bacd, v112, v133 op_sel:[0,0,1] op_sel_hi:[1,1,0] neg_lo:[0,0,1] neg_hi:[0,0,1]
	v_pk_add_f16 v92, v127, v92
	v_fma_f16 v127, v135, 0xbacd, -v122
	s_delay_alu instid0(VALU_DEP_1) | instskip(SKIP_1) | instid1(VALU_DEP_1)
	v_add_f16_e64 v129, v127, v129
	v_mul_f16_e32 v127, 0xb1e1, v119
	v_fma_f16 v136, v138, 0xbbdd, -v127
	s_delay_alu instid0(VALU_DEP_1) | instskip(SKIP_1) | instid1(VALU_DEP_1)
	v_add_f16_e64 v67, v136, v67
	v_mul_f16_e64 v136, 0x3bb2, v119
	v_fma_f16 v137, v138, 0xb461, -v136
	s_delay_alu instid0(VALU_DEP_1) | instskip(SKIP_2) | instid1(VALU_DEP_2)
	v_add_f16_e64 v68, v137, v68
	v_fma_f16 v137, 0x3b76, v138, v130
	v_fma_f16 v130, v138, 0x3b76, -v130
	v_add_f16_e64 v72, v137, v72
	s_delay_alu instid0(VALU_DEP_2) | instskip(SKIP_1) | instid1(VALU_DEP_1)
	v_add_f16_e64 v73, v130, v73
	v_mul_f16_e64 v130, 0xbb29, v119
	v_fma_f16 v137, 0x3722, v138, v130
	v_fma_f16 v130, v138, 0x3722, -v130
	s_delay_alu instid0(VALU_DEP_2) | instskip(NEXT) | instid1(VALU_DEP_2)
	v_add_f16_e64 v75, v137, v75
	v_add_f16_e64 v77, v130, v77
	v_mul_f16_e64 v130, 0xb836, v119
	s_delay_alu instid0(VALU_DEP_1) | instskip(SKIP_1) | instid1(VALU_DEP_2)
	v_fma_f16 v137, 0xbacd, v138, v130
	v_fma_f16 v130, v138, 0xbacd, -v130
	v_add_f16_e64 v80, v137, v80
	s_delay_alu instid0(VALU_DEP_2) | instskip(SKIP_2) | instid1(VALU_DEP_2)
	v_add_f16_e64 v82, v130, v82
	v_fma_f16 v130, v123, 0xb8d2, -v121
	v_fmac_f16_e32 v121, 0xb8d2, v123
	v_add_f16_e64 v86, v130, v86
	v_mul_f16_e64 v130, 0x3a62, v119
	s_delay_alu instid0(VALU_DEP_3) | instskip(NEXT) | instid1(VALU_DEP_2)
	v_add_f16_e32 v84, v121, v84
	v_fma_f16 v137, 0xb8d2, v138, v130
	v_fma_f16 v121, v138, 0xb8d2, -v130
	v_mul_f16_e64 v130, 0x3836, v116
	s_delay_alu instid0(VALU_DEP_3) | instskip(SKIP_1) | instid1(VALU_DEP_4)
	v_add_f16_e64 v90, v137, v90
	v_pk_mul_f16 v137, 0x3964bbf7, v119
	v_add_f16_e32 v88, v121, v88
	v_mul_f16_e32 v119, 0x3964, v119
	s_delay_alu instid0(VALU_DEP_3) | instskip(NEXT) | instid1(VALU_DEP_1)
	v_pk_fma_f16 v121, 0x2de839e9, v123, v137 op_sel:[0,0,1] op_sel_hi:[1,1,0] neg_lo:[0,0,1] neg_hi:[0,0,1]
	v_pk_add_f16 v92, v121, v92
	s_delay_alu instid0(VALU_DEP_3) | instskip(NEXT) | instid1(VALU_DEP_1)
	v_fma_f16 v121, v138, 0x39e9, -v119
	v_add_f16_e64 v121, v121, v129
	v_fma_f16 v129, v147, 0xbacd, -v130
	s_delay_alu instid0(VALU_DEP_1) | instskip(SKIP_1) | instid1(VALU_DEP_1)
	v_add_f16_e64 v67, v129, v67
	v_fma_f16 v129, v147, 0x39e9, -v139
	v_add_f16_e64 v68, v129, v68
	v_fma_f16 v129, 0x3722, v147, v126
	v_fma_f16 v126, v147, 0x3722, -v126
	s_delay_alu instid0(VALU_DEP_2) | instskip(NEXT) | instid1(VALU_DEP_2)
	v_add_f16_e64 v72, v129, v72
	v_add_f16_e32 v73, v126, v73
	v_mul_f16_e32 v126, 0xb1e1, v116
	s_delay_alu instid0(VALU_DEP_1) | instskip(SKIP_1) | instid1(VALU_DEP_2)
	v_fma_f16 v129, 0xbbdd, v147, v126
	v_fma_f16 v126, v147, 0xbbdd, -v126
	v_add_f16_e64 v75, v129, v75
	s_delay_alu instid0(VALU_DEP_2) | instskip(SKIP_1) | instid1(VALU_DEP_1)
	v_add_f16_e32 v77, v126, v77
	v_mul_f16_e32 v126, 0x3bf7, v116
	v_fma_f16 v129, 0x2de8, v147, v126
	v_fma_f16 v126, v147, 0x2de8, -v126
	s_delay_alu instid0(VALU_DEP_2) | instskip(NEXT) | instid1(VALU_DEP_2)
	v_add_f16_e64 v80, v129, v80
	v_add_f16_e32 v82, v126, v82
	v_fma_f16 v126, v124, 0x3b76, -v118
	v_fmac_f16_e32 v118, 0x3b76, v124
	s_delay_alu instid0(VALU_DEP_2) | instskip(SKIP_1) | instid1(VALU_DEP_3)
	v_add_f16_e32 v86, v126, v86
	v_mul_f16_e32 v126, 0xb5c8, v116
	v_add_f16_e32 v84, v118, v84
	s_delay_alu instid0(VALU_DEP_2) | instskip(SKIP_2) | instid1(VALU_DEP_3)
	v_fma_f16 v118, v147, 0x3b76, -v126
	v_fma_f16 v129, 0x3b76, v147, v126
	v_mul_f16_e32 v126, 0x3bb2, v114
	v_add_f16_e32 v88, v118, v88
	v_pk_fma_f16 v118, 0xb461b8d2, v124, v144 op_sel:[0,0,1] op_sel_hi:[1,1,0] neg_lo:[0,0,1] neg_hi:[0,0,1]
	s_delay_alu instid0(VALU_DEP_4) | instskip(SKIP_1) | instid1(VALU_DEP_3)
	v_add_f16_e64 v90, v129, v90
	v_mul_f16_e64 v129, 0xba62, v116
	v_pk_add_f16 v92, v118, v92
	v_fma_f16 v118, v154, 0xb461, -v126
	s_delay_alu instid0(VALU_DEP_3) | instskip(NEXT) | instid1(VALU_DEP_2)
	v_fma_f16 v116, v147, 0xb8d2, -v129
	v_add_f16_e32 v67, v118, v67
	v_fma_f16 v118, v154, 0x3b76, -v148
	s_delay_alu instid0(VALU_DEP_3) | instskip(SKIP_1) | instid1(VALU_DEP_3)
	v_add_f16_e32 v116, v116, v121
	v_mul_f16_e32 v121, 0x3b29, v114
	v_add_f16_e32 v68, v118, v68
	v_mul_f16_e32 v118, 0xb836, v114
	s_delay_alu instid0(VALU_DEP_1) | instskip(SKIP_1) | instid1(VALU_DEP_2)
	v_fma_f16 v120, 0xbacd, v154, v118
	v_fma_f16 v118, v154, 0xbacd, -v118
	v_add_f16_e32 v72, v120, v72
	s_delay_alu instid0(VALU_DEP_2) | instskip(SKIP_1) | instid1(VALU_DEP_1)
	v_add_f16_e32 v73, v118, v73
	v_mul_f16_e32 v118, 0x3bf7, v114
	v_fma_f16 v120, 0x2de8, v154, v118
	v_fma_f16 v118, v154, 0x2de8, -v118
	s_delay_alu instid0(VALU_DEP_2) | instskip(NEXT) | instid1(VALU_DEP_2)
	v_add_f16_e32 v75, v120, v75
	v_add_f16_e32 v77, v118, v77
	v_mul_f16_e32 v118, 0xb964, v114
	s_delay_alu instid0(VALU_DEP_1) | instskip(SKIP_1) | instid1(VALU_DEP_2)
	v_fma_f16 v120, 0x39e9, v154, v118
	v_fma_f16 v118, v154, 0x39e9, -v118
	v_add_f16_e32 v80, v120, v80
	s_delay_alu instid0(VALU_DEP_2) | instskip(SKIP_2) | instid1(VALU_DEP_2)
	v_add_f16_e32 v82, v118, v82
	v_fma_f16 v118, v125, 0xbbdd, -v115
	v_fmac_f16_e32 v115, 0xbbdd, v125
	v_add_f16_e32 v86, v118, v86
	v_mul_f16_e32 v118, 0xb1e1, v114
	s_delay_alu instid0(VALU_DEP_3) | instskip(SKIP_1) | instid1(VALU_DEP_3)
	v_add_f16_e32 v84, v115, v84
	v_fma_f16 v114, v154, 0x3722, -v121
	v_fma_f16 v115, v154, 0xbbdd, -v118
	v_fma_f16 v120, 0xbbdd, v154, v118
	s_delay_alu instid0(VALU_DEP_3) | instskip(NEXT) | instid1(VALU_DEP_3)
	v_add_f16_e32 v114, v114, v116
	v_add_f16_e32 v88, v115, v88
	v_pk_fma_f16 v115, 0xb8d23722, v125, v153 op_sel:[0,0,1] op_sel_hi:[1,1,0] neg_lo:[0,0,1] neg_hi:[0,0,1]
	s_delay_alu instid0(VALU_DEP_4) | instskip(NEXT) | instid1(VALU_DEP_2)
	v_add_f16_e32 v90, v120, v90
	v_pk_add_f16 v92, v115, v92
	v_fma_f16 v115, v157, 0x3722, -v140
	s_delay_alu instid0(VALU_DEP_1) | instskip(SKIP_1) | instid1(VALU_DEP_1)
	v_add_f16_e32 v67, v115, v67
	v_fma_f16 v115, v157, 0x2de8, -v152
	v_add_f16_e32 v68, v115, v68
	v_mul_f16_e32 v115, 0x3a62, v106
	s_delay_alu instid0(VALU_DEP_1) | instskip(SKIP_1) | instid1(VALU_DEP_2)
	v_fma_f16 v116, 0xb8d2, v157, v115
	v_fma_f16 v115, v157, 0xb8d2, -v115
	v_add_f16_e32 v72, v116, v72
	s_delay_alu instid0(VALU_DEP_2) | instskip(SKIP_1) | instid1(VALU_DEP_1)
	v_add_f16_e32 v73, v115, v73
	v_mul_f16_e32 v115, 0xb5c8, v106
	v_fma_f16 v116, 0x3b76, v157, v115
	v_fma_f16 v115, v157, 0x3b76, -v115
	s_delay_alu instid0(VALU_DEP_2) | instskip(NEXT) | instid1(VALU_DEP_2)
	v_add_f16_e32 v75, v116, v75
	v_add_f16_e32 v77, v115, v77
	v_mul_f16_e32 v115, 0xb1e1, v106
	s_delay_alu instid0(VALU_DEP_1) | instskip(SKIP_1) | instid1(VALU_DEP_2)
	v_fma_f16 v116, 0xbbdd, v157, v115
	v_fma_f16 v115, v157, 0xbbdd, -v115
	v_add_f16_e32 v80, v116, v80
	s_delay_alu instid0(VALU_DEP_2) | instskip(SKIP_2) | instid1(VALU_DEP_2)
	v_add_f16_e32 v82, v115, v82
	v_fma_f16 v115, v110, 0x39e9, -v113
	v_fmac_f16_e32 v113, 0x39e9, v110
	v_add_f16_e32 v86, v115, v86
	v_mul_f16_e32 v115, 0x3964, v106
	s_delay_alu instid0(VALU_DEP_3) | instskip(SKIP_1) | instid1(VALU_DEP_3)
	v_add_f16_e32 v84, v113, v84
	v_mul_f16_e32 v106, 0xbbb2, v106
	v_fma_f16 v113, v157, 0x39e9, -v115
	v_fma_f16 v116, 0x39e9, v157, v115
	s_delay_alu instid0(VALU_DEP_2) | instskip(SKIP_1) | instid1(VALU_DEP_3)
	v_add_f16_e32 v88, v113, v88
	v_pk_fma_f16 v113, 0xbacdb461, v110, v158 op_sel:[0,0,1] op_sel_hi:[1,1,0] neg_lo:[0,0,1] neg_hi:[0,0,1]
	v_add_f16_e32 v90, v116, v90
	s_delay_alu instid0(VALU_DEP_2) | instskip(SKIP_1) | instid1(VALU_DEP_1)
	v_pk_add_f16 v92, v113, v92
	v_fma_f16 v113, v157, 0xb461, -v106
	v_add_f16_e64 v161, v113, v114
	v_fma_f16 v113, v159, 0x3b76, -v141
	s_delay_alu instid0(VALU_DEP_1) | instskip(SKIP_1) | instid1(VALU_DEP_1)
	v_add_f16_e32 v74, v113, v67
	v_fma_f16 v67, v159, 0xbacd, -v156
	v_add_f16_e32 v76, v67, v68
	v_mul_f16_e32 v67, 0x3964, v44
	s_delay_alu instid0(VALU_DEP_1) | instskip(SKIP_1) | instid1(VALU_DEP_2)
	v_fma_f16 v68, 0x39e9, v159, v67
	v_fma_f16 v67, v159, 0x39e9, -v67
	v_add_f16_e32 v113, v68, v72
	s_delay_alu instid0(VALU_DEP_2) | instskip(SKIP_3) | instid1(VALU_DEP_3)
	v_add_f16_e32 v78, v67, v73
	v_pk_fma_f16 v67, 0x3b76bbdd, v57, v131 op_sel:[0,0,1] op_sel_hi:[1,1,0]
	v_mul_f16_e32 v68, 0x3b76, v34
	v_perm_b32 v72, v132, v0, 0x7060302
	v_pack_b32_f16 v67, v128, v67
	s_delay_alu instid0(VALU_DEP_3) | instskip(NEXT) | instid1(VALU_DEP_1)
	v_perm_b32 v68, v0, v68, 0x5040100
	v_pk_add_f16 v67, v67, v68
	v_fmamk_f16 v68, v33, 0xbbdd, v94
	s_delay_alu instid0(VALU_DEP_1) | instskip(NEXT) | instid1(VALU_DEP_1)
	v_pack_b32_f16 v68, v68, v142
	v_pk_add_f16 v68, v68, v72
	v_mul_f16_e32 v72, 0xba62, v44
	s_delay_alu instid0(VALU_DEP_2) | instskip(NEXT) | instid1(VALU_DEP_2)
	v_pk_add_f16 v67, v68, v67
	v_fma_f16 v73, 0xb8d2, v159, v72
	v_pack_b32_f16 v68, v122, v145
	v_fma_f16 v72, v159, 0xb8d2, -v72
	s_delay_alu instid0(VALU_DEP_3) | instskip(SKIP_1) | instid1(VALU_DEP_3)
	v_add_f16_e64 v216, v73, v75
	v_mul_f16_e64 v73, 0xbacd, v135
	v_add_f16_e32 v79, v72, v77
	v_mul_f16_e64 v72, 0x39e9, v138
	s_delay_alu instid0(VALU_DEP_3) | instskip(NEXT) | instid1(VALU_DEP_2)
	v_bfi_b32 v73, 0xffff, v73, v133
	v_bfi_b32 v72, 0xffff, v72, v137
	s_delay_alu instid0(VALU_DEP_2) | instskip(NEXT) | instid1(VALU_DEP_1)
	v_pk_add_f16 v68, v68, v73
	v_pk_add_f16 v67, v68, v67
	v_pack_b32_f16 v68, v119, v151
	s_delay_alu instid0(VALU_DEP_1) | instskip(SKIP_1) | instid1(VALU_DEP_2)
	v_pk_add_f16 v68, v68, v72
	v_mul_f16_e32 v72, 0x3b29, v44
	v_pk_add_f16 v67, v68, v67
	s_delay_alu instid0(VALU_DEP_2) | instskip(SKIP_2) | instid1(VALU_DEP_3)
	v_fma_f16 v73, 0x3722, v159, v72
	v_pack_b32_f16 v68, v129, v143
	v_fma_f16 v72, v159, 0x3722, -v72
	v_add_f16_e32 v120, v73, v80
	v_mul_f16_e64 v73, 0xb8d2, v147
	s_delay_alu instid0(VALU_DEP_3) | instskip(SKIP_1) | instid1(VALU_DEP_3)
	v_add_f16_e32 v114, v72, v82
	v_mul_f16_e64 v72, 0x3722, v154
	v_bfi_b32 v73, 0xffff, v73, v144
	s_delay_alu instid0(VALU_DEP_2) | instskip(NEXT) | instid1(VALU_DEP_2)
	v_bfi_b32 v72, 0xffff, v72, v153
	v_pk_add_f16 v68, v68, v73
	s_delay_alu instid0(VALU_DEP_1) | instskip(SKIP_1) | instid1(VALU_DEP_1)
	v_pk_add_f16 v67, v68, v67
	v_pack_b32_f16 v68, v121, v146
	v_pk_add_f16 v68, v68, v72
	v_mul_f16_e32 v72, 0xbbb2, v44
	v_mul_f16_e32 v44, 0x3bf7, v44
	s_delay_alu instid0(VALU_DEP_3) | instskip(NEXT) | instid1(VALU_DEP_3)
	v_pk_add_f16 v67, v68, v67
	v_fma_f16 v73, 0xb461, v159, v72
	v_pack_b32_f16 v68, v106, v149
	v_fma_f16 v72, v159, 0xb461, -v72
	s_delay_alu instid0(VALU_DEP_3) | instskip(SKIP_1) | instid1(VALU_DEP_3)
	v_add_f16_e32 v122, v73, v90
	v_mul_f16_e64 v73, 0xb461, v157
	v_add_f16_e64 v129, v72, v88
	v_pack_b32_f16 v72, v44, v150
	v_fma_f16 v44, v159, 0x2de8, -v44
	s_delay_alu instid0(VALU_DEP_4) | instskip(NEXT) | instid1(VALU_DEP_2)
	v_bfi_b32 v73, 0xffff, v73, v158
	v_add_f16_e64 v128, v44, v161
	v_mul_f16_e32 v44, 0xbbb2, v41
	s_delay_alu instid0(VALU_DEP_3) | instskip(NEXT) | instid1(VALU_DEP_2)
	v_pk_add_f16 v68, v68, v73
	v_fma_f16 v41, v111, 0xb461, -v44
	s_delay_alu instid0(VALU_DEP_2) | instskip(SKIP_2) | instid1(VALU_DEP_4)
	v_pk_add_f16 v67, v68, v67
	v_mul_f16_e64 v68, 0x2de8, v159
	v_fmac_f16_e32 v44, 0xb461, v111
	v_add_f16_e32 v41, v41, v86
	s_delay_alu instid0(VALU_DEP_3) | instskip(NEXT) | instid1(VALU_DEP_3)
	v_bfi_b32 v68, 0xffff, v68, v160
	v_add_f16_e32 v44, v44, v84
	s_delay_alu instid0(VALU_DEP_2) | instskip(SKIP_1) | instid1(VALU_DEP_2)
	v_pk_add_f16 v68, v72, v68
	v_pk_fma_f16 v72, 0xbbdd2de8, v111, v160 op_sel:[0,0,1] op_sel_hi:[1,1,0] neg_lo:[0,0,1] neg_hi:[0,0,1]
	v_pk_add_f16 v118, v68, v67
	s_delay_alu instid0(VALU_DEP_2)
	v_pk_add_f16 v155, v72, v92
	s_and_saveexec_b32 s2, vcc_lo
	s_cbranch_execz .LBB0_7
; %bb.6:
	v_mul_f16_e32 v68, 0x39e9, v33
	v_mul_f16_e32 v33, 0x3722, v33
	;; [unrolled: 1-line block ×4, first 2 shown]
	v_mul_f16_e64 v88, 0xbbdd, v135
	v_mul_f16_e32 v80, 0x3722, v112
	v_add_f16_e32 v31, v31, v33
	v_mul_f16_e32 v82, 0xb8d2, v112
	v_add_f16_e32 v30, v30, v34
	v_mul_f16_e32 v86, 0xbbdd, v112
	v_mul_f16_e64 v112, 0xb461, v138
	v_add_f16_e32 v31, v31, v27
	v_mul_f16_e64 v94, 0xbbdd, v138
	v_mul_f16_e64 v138, 0xbacd, v147
	;; [unrolled: 1-line block ×3, first 2 shown]
	v_mul_f16_e32 v69, 0x3722, v57
	v_add_f16_e32 v30, v30, v31
	v_add_f16_e64 v31, v134, v88
	v_mul_f16_e64 v163, 0xb461, v154
	v_mul_f16_e64 v154, 0x3b76, v154
	v_mul_f16_e32 v77, 0xb8d2, v108
	v_mul_f16_e64 v165, 0x3722, v157
	v_add_f16_e32 v30, v31, v30
	v_add_f16_e64 v31, v136, v112
	v_mul_f16_e64 v157, 0x2de8, v157
	v_sub_f16_e32 v64, v69, v64
	v_mul_f16_e64 v88, 0xbacd, v159
	v_sub_f16_e32 v63, v77, v63
	v_add_f16_e32 v30, v31, v30
	v_add_f16_e64 v31, v139, v147
	v_add_f16_e32 v64, v64, v0
	v_add_f16_e32 v29, v29, v68
	v_mul_f16_e32 v67, 0x39e9, v57
	v_mul_f16_e32 v72, 0x39e9, v108
	v_add_f16_e32 v30, v31, v30
	v_add_f16_e64 v31, v148, v154
	v_mul_f16_e32 v73, 0x2de8, v108
	v_mul_f16_e64 v84, 0xb8d2, v135
	v_mul_f16_e32 v108, 0xb461, v123
	v_add_f16_e32 v63, v63, v64
	v_add_f16_e32 v30, v31, v30
	v_add_f16_e64 v31, v152, v157
	v_sub_f16_e32 v64, v86, v109
	v_add_f16_e32 v27, v29, v27
	v_add_f16_e32 v28, v28, v75
	v_pk_add_f16 v1, v1, v0
	v_add_f16_e32 v29, v31, v30
	v_add_f16_e64 v30, v156, v88
	v_mul_f16_e32 v90, 0x2de8, v123
	v_mul_f16_e32 v92, 0xbbdd, v123
	;; [unrolled: 1-line block ×3, first 2 shown]
	v_mul_f16_e64 v135, 0xbacd, v124
	v_mul_f16_e32 v124, 0x39e9, v124
	v_add_f16_e32 v63, v64, v63
	v_sub_f16_e32 v61, v108, v61
	v_add_f16_e32 v27, v28, v27
	v_add_f16_e32 v28, v32, v84
	v_add_f16_e32 v29, v30, v29
	v_sub_f16_e32 v30, v67, v56
	v_pk_add_f16 v1, v23, v1
	v_mul_f16_e64 v161, 0xb8d2, v125
	v_mul_f16_e64 v162, 0xb461, v125
	v_mul_f16_e32 v125, 0x3b76, v125
	v_add_f16_e32 v31, v61, v63
	v_sub_f16_e32 v61, v124, v62
	v_add_f16_e32 v27, v28, v27
	v_add_f16_e32 v28, v127, v94
	;; [unrolled: 1-line block ×3, first 2 shown]
	v_sub_f16_e32 v55, v73, v55
	v_pk_add_f16 v1, v24, v1
	v_mul_f16_e64 v164, 0xbacd, v110
	v_mul_f16_e32 v33, 0x3722, v110
	v_mul_f16_e32 v110, 0x2de8, v110
	v_add_f16_e32 v31, v61, v31
	v_sub_f16_e32 v32, v125, v59
	v_add_f16_e32 v27, v28, v27
	v_add_f16_e64 v28, v130, v138
	v_add_f16_e32 v30, v55, v30
	v_sub_f16_e32 v51, v82, v51
	v_pk_add_f16 v1, v25, v1
	v_mul_f16_e32 v66, 0x3b76, v57
	v_mul_f16_e32 v34, 0xbbdd, v111
	v_mul_f16_e64 v166, 0x3b76, v111
	v_mul_f16_e32 v111, 0xbacd, v111
	v_pk_mul_f16 v57, 0x3b76bbdd, v57
	v_add_f16_e32 v31, v32, v31
	v_sub_f16_e32 v32, v110, v60
	v_add_f16_e32 v27, v28, v27
	v_add_f16_e64 v28, v126, v163
	v_add_f16_e32 v23, v51, v30
	v_sub_f16_e32 v30, v92, v52
	v_pk_add_f16 v1, v26, v1
	v_alignbit_b32 v131, v131, v131, 16
	v_add_f16_e32 v31, v32, v31
	v_sub_f16_e32 v32, v111, v58
	v_add_f16_e32 v27, v28, v27
	v_add_f16_e64 v24, v140, v165
	v_add_f16_e32 v23, v30, v23
	v_sub_f16_e64 v28, v135, v53
	v_bfi_b32 v25, 0xffff, v36, v57
	v_pk_add_f16 v1, v10, v1
	v_alignbit_b32 v132, v132, v132, 16
	v_add_f16_e32 v30, v32, v31
	v_add_f16_e32 v24, v24, v27
	;; [unrolled: 1-line block ×3, first 2 shown]
	v_sub_f16_e64 v27, v162, v54
	v_pk_add_f16 v25, v66, v25 neg_lo:[0,1] neg_hi:[0,1]
	v_pk_add_f16 v26, v131, v57
	v_bfi_b32 v31, 0xffff, v37, v142
	v_pk_add_f16 v1, v11, v1
	v_alignbit_b32 v112, v133, v133, 16
	v_add_f16_e32 v10, v27, v23
	v_bfi_b32 v23, 0xffff, v25, v26
	v_bfi_b32 v25, 0xffff, v42, v145
	v_pk_add_f16 v26, v72, v31 neg_lo:[0,1] neg_hi:[0,1]
	v_pk_add_f16 v11, v132, v142
	v_pk_add_f16 v1, v8, v1
	v_alignbit_b32 v69, v137, v137, 16
	v_bfi_b32 v27, 0xffff, v50, v151
	v_pk_add_f16 v25, v80, v25 neg_lo:[0,1] neg_hi:[0,1]
	v_pk_add_f16 v31, v112, v145
	v_bfi_b32 v8, 0xffff, v26, v11
	v_pk_add_f16 v1, v9, v1
	v_pk_add_f16 v0, v23, v0
	v_alignbit_b32 v133, v144, v144, 16
	v_pk_add_f16 v11, v90, v27 neg_lo:[0,1] neg_hi:[0,1]
	v_pk_add_f16 v26, v69, v151
	v_bfi_b32 v25, 0xffff, v25, v31
	v_bfi_b32 v9, 0xffff, v39, v143
	v_pk_add_f16 v1, v6, v1
	v_pk_add_f16 v0, v8, v0
	v_alignbit_b32 v77, v153, v153, 16
	v_bfi_b32 v11, 0xffff, v11, v26
	v_bfi_b32 v23, 0xffff, v47, v146
	v_pk_add_f16 v6, v123, v9 neg_lo:[0,1] neg_hi:[0,1]
	v_pk_add_f16 v8, v133, v143
	v_pk_add_f16 v1, v7, v1
	;; [unrolled: 1-line block ×3, first 2 shown]
	v_alignbit_b32 v134, v158, v158, 16
	v_pk_add_f16 v9, v161, v23 neg_lo:[0,1] neg_hi:[0,1]
	v_pk_add_f16 v7, v77, v146
	v_bfi_b32 v23, 0xffff, v48, v149
	v_bfi_b32 v6, 0xffff, v6, v8
	v_pk_add_f16 v1, v4, v1
	v_pk_add_f16 v0, v11, v0
	v_alignbit_b32 v86, v160, v160, 16
	v_bfi_b32 v4, 0xffff, v9, v7
	v_pk_add_f16 v7, v164, v23 neg_lo:[0,1] neg_hi:[0,1]
	v_pk_add_f16 v8, v134, v149
	v_pk_add_f16 v1, v5, v1
	;; [unrolled: 1-line block ×3, first 2 shown]
	v_bfi_b32 v5, 0xffff, v43, v150
	v_mul_f16_e64 v167, 0x3b76, v159
	v_sub_f16_e32 v6, v33, v38
	v_bfi_b32 v7, 0xffff, v7, v8
	v_pk_add_f16 v1, v2, v1
	v_pk_add_f16 v0, v4, v0
	v_pk_add_f16 v2, v34, v5 neg_lo:[0,1] neg_hi:[0,1]
	v_pk_add_f16 v4, v86, v150
	v_add_f16_e64 v28, v141, v167
	v_add_f16_e32 v5, v6, v10
	v_sub_f16_e64 v6, v166, v40
	v_pk_add_f16 v1, v3, v1
	v_pk_add_f16 v0, v7, v0
	v_bfi_b32 v2, 0xffff, v2, v4
	v_add_f16_e32 v3, v28, v24
	v_add_f16_e32 v4, v6, v5
	v_lshl_add_u32 v5, v71, 2, v70
	v_pk_add_f16 v1, v35, v1
	v_pk_add_f16 v0, v2, v0
	v_pack_b32_f16 v2, v30, v29
	v_pack_b32_f16 v3, v4, v3
	v_perm_b32 v4, v216, v19, 0x5040100
	v_perm_b32 v6, v113, v46, 0x5040100
	;; [unrolled: 1-line block ×4, first 2 shown]
	ds_store_2addr_b32 v5, v1, v0 offset1:1
	ds_store_2addr_b32 v5, v3, v2 offset0:2 offset1:3
	ds_store_2addr_b32 v5, v6, v4 offset0:4 offset1:5
	;; [unrolled: 1-line block ×3, first 2 shown]
	v_perm_b32 v0, v118, v155, 0x5040100
	v_alignbit_b32 v1, v128, v118, 16
	v_perm_b32 v2, v114, v21, 0x5040100
	v_perm_b32 v3, v129, v44, 0x5040100
	;; [unrolled: 1-line block ×6, first 2 shown]
	v_bfi_b32 v9, 0xffff, v16, v155
	ds_store_2addr_b32 v5, v0, v1 offset0:8 offset1:9
	ds_store_2addr_b32 v5, v3, v2 offset0:10 offset1:11
	;; [unrolled: 1-line block ×4, first 2 shown]
	ds_store_b32 v5, v9 offset:64
.LBB0_7:
	s_wait_alu 0xfffe
	s_or_b32 exec_lo, exec_lo, s2
	v_lshlrev_b32_e32 v0, 3, v96
	global_wb scope:SCOPE_SE
	s_wait_dscnt 0x0
	s_barrier_signal -1
	s_barrier_wait -1
	global_inv scope:SCOPE_SE
	global_load_b64 v[23:24], v0, s[0:1]
	v_add_nc_u16 v0, v96, 34
	v_add_nc_u16 v1, v96, 51
	;; [unrolled: 1-line block ×5, first 2 shown]
	v_and_b32_e32 v3, 0xff, v0
	v_and_b32_e32 v5, 0xff, v1
	;; [unrolled: 1-line block ×5, first 2 shown]
	v_mul_lo_u16 v3, 0xf1, v3
	v_mul_lo_u16 v5, 0xf1, v5
	;; [unrolled: 1-line block ×5, first 2 shown]
	v_lshrrev_b16 v3, 12, v3
	v_lshrrev_b16 v5, 12, v5
	;; [unrolled: 1-line block ×5, first 2 shown]
	v_mul_lo_u16 v3, v3, 17
	v_mul_lo_u16 v5, v5, 17
	;; [unrolled: 1-line block ×3, first 2 shown]
	v_add_nc_u32_e32 v63, 0x400, v65
	v_mad_co_u64_u32 v[42:43], null, v96, 24, s[0:1]
	v_sub_nc_u16 v50, v0, v3
	v_mul_lo_u16 v0, v8, 17
	v_sub_nc_u16 v51, v1, v5
	v_mul_lo_u16 v1, v9, 17
	v_sub_nc_u16 v52, v2, v7
	v_lshlrev_b16 v2, 1, v50
	v_sub_nc_u16 v53, v4, v0
	v_lshlrev_b16 v0, 1, v51
	;; [unrolled: 2-line block ×3, first 2 shown]
	v_and_b32_e32 v2, 0xfe, v2
	v_lshlrev_b16 v3, 1, v53
	v_and_b32_e32 v0, 0xfe, v0
	v_lshlrev_b16 v4, 1, v54
	v_and_b32_e32 v1, 0xfe, v1
	v_lshlrev_b32_e32 v2, 2, v2
	v_and_b32_e32 v3, 0xfe, v3
	v_lshlrev_b32_e32 v0, 2, v0
	;; [unrolled: 2-line block ×3, first 2 shown]
	global_load_b64 v[33:34], v2, s[0:1]
	v_and_b32_e32 v53, 0xff, v53
	global_load_b64 v[31:32], v0, s[0:1]
	v_lshlrev_b32_e32 v2, 2, v3
	v_lshlrev_b32_e32 v0, 2, v4
	s_clause 0x2
	global_load_b64 v[29:30], v1, s[0:1]
	global_load_b64 v[27:28], v2, s[0:1]
	;; [unrolled: 1-line block ×3, first 2 shown]
	ds_load_2addr_b32 v[0:1], v65 offset1:17
	ds_load_2addr_b32 v[2:3], v65 offset0:102 offset1:119
	ds_load_2addr_b32 v[4:5], v65 offset0:238 offset1:255
	;; [unrolled: 1-line block ×6, first 2 shown]
	v_and_b32_e32 v54, 0xff, v54
	v_and_b32_e32 v52, 0xff, v52
	v_lshl_add_u32 v106, v53, 2, v70
	ds_load_2addr_b32 v[37:38], v65 offset0:204 offset1:221
	ds_load_b32 v55, v65 offset:1360
	ds_load_2addr_b32 v[39:40], v63 offset0:16 offset1:33
	ds_load_2addr_b32 v[47:48], v63 offset0:50 offset1:67
	v_lshl_add_u32 v150, v54, 2, v70
	v_lshl_add_u32 v111, v52, 2, v70
	global_wb scope:SCOPE_SE
	s_wait_loadcnt_dscnt 0x0
	s_barrier_signal -1
	s_barrier_wait -1
	global_inv scope:SCOPE_SE
	v_and_b32_e32 v50, 0xff, v50
	v_and_b32_e32 v51, 0xff, v51
	v_lshrrev_b32_e32 v56, 16, v0
	v_lshrrev_b32_e32 v57, 16, v3
	;; [unrolled: 1-line block ×21, first 2 shown]
	v_lshl_add_u32 v151, v50, 2, v70
	v_lshl_add_u32 v110, v51, 2, v70
	v_add_nc_u32_e32 v50, 0x200, v106
	v_add_nc_u32_e32 v51, 0x400, v150
	v_lshl_add_u32 v162, v45, 2, v49
	s_add_nc_u64 s[0:1], s[12:13], 0x594
	v_lshrrev_b32_e32 v119, 16, v23
	v_lshrrev_b32_e32 v117, 16, v24
	s_delay_alu instid0(VALU_DEP_2) | instskip(SKIP_1) | instid1(VALU_DEP_3)
	v_mul_f16_e32 v52, v57, v119
	v_mul_f16_e32 v53, v3, v119
	;; [unrolled: 1-line block ×8, first 2 shown]
	v_fma_f16 v3, v3, v23, -v52
	v_fmac_f16_e32 v53, v57, v23
	v_fma_f16 v4, v4, v24, -v54
	v_fmac_f16_e32 v90, v58, v24
	;; [unrolled: 2-line block ×4, first 2 shown]
	v_add_f16_e32 v54, v3, v4
	v_sub_f16_e32 v57, v53, v90
	v_add_f16_e32 v58, v56, v53
	v_add_f16_e32 v53, v53, v90
	;; [unrolled: 1-line block ×3, first 2 shown]
	v_sub_f16_e32 v92, v94, v125
	v_add_f16_e32 v123, v59, v94
	v_add_f16_e32 v94, v94, v125
	;; [unrolled: 1-line block ×3, first 2 shown]
	v_sub_f16_e32 v3, v3, v4
	v_fma_f16 v0, -0.5, v54, v0
	v_fmac_f16_e32 v56, -0.5, v53
	v_add_f16_e32 v60, v1, v6
	v_sub_f16_e32 v6, v6, v5
	v_fmac_f16_e32 v1, -0.5, v61
	v_fmac_f16_e32 v59, -0.5, v94
	v_add_f16_e32 v4, v52, v4
	v_add_f16_e32 v52, v58, v90
	v_fmamk_f16 v54, v57, 0x3aee, v0
	v_fmac_f16_e32 v0, 0xbaee, v57
	v_fmamk_f16 v57, v3, 0xbaee, v56
	v_add_f16_e32 v5, v60, v5
	v_add_f16_e32 v53, v123, v125
	v_fmac_f16_e32 v56, 0x3aee, v3
	v_fmamk_f16 v3, v92, 0x3aee, v1
	v_fmac_f16_e32 v1, 0xbaee, v92
	v_fmamk_f16 v58, v6, 0xbaee, v59
	v_fmac_f16_e32 v59, 0x3aee, v6
	v_pack_b32_f16 v4, v4, v52
	v_pack_b32_f16 v6, v54, v57
	v_lshrrev_b32_e32 v124, 16, v33
	v_lshrrev_b32_e32 v134, 16, v34
	v_pack_b32_f16 v5, v5, v53
	v_pack_b32_f16 v0, v0, v56
	v_lshrrev_b32_e32 v133, 16, v31
	v_lshrrev_b32_e32 v132, 16, v32
	;; [unrolled: 4-line block ×3, first 2 shown]
	v_lshrrev_b32_e32 v127, 16, v27
	v_lshrrev_b32_e32 v125, 16, v28
	;; [unrolled: 1-line block ×4, first 2 shown]
	ds_store_2addr_b32 v65, v4, v6 offset1:17
	ds_store_2addr_b32 v65, v0, v5 offset0:34 offset1:51
	ds_store_2addr_b32 v65, v3, v1 offset0:68 offset1:85
	v_mul_f16_e32 v0, v64, v124
	v_mul_f16_e32 v1, v7, v124
	v_mul_f16_e64 v3, v82, v134
	v_mul_f16_e64 v4, v39, v134
	;; [unrolled: 1-line block ×10, first 2 shown]
	v_mul_f16_e32 v59, v73, v127
	v_mul_f16_e32 v60, v37, v127
	;; [unrolled: 1-line block ×6, first 2 shown]
	v_mul_f16_e64 v137, v80, v112
	v_mul_f16_e64 v138, v55, v112
	v_fma_f16 v0, v7, v33, -v0
	v_fmac_f16_e32 v1, v64, v33
	v_fma_f16 v3, v39, v34, -v3
	v_fmac_f16_e32 v4, v82, v34
	;; [unrolled: 2-line block ×9, first 2 shown]
	v_fma_f16 v40, v55, v26, -v137
	v_fmac_f16_e64 v138, v80, v26
	v_add_f16_e32 v48, v0, v3
	v_sub_f16_e32 v52, v1, v4
	v_add_f16_e32 v54, v62, v1
	v_add_f16_e32 v1, v1, v4
	;; [unrolled: 1-line block ×3, first 2 shown]
	v_sub_f16_e32 v59, v6, v53
	v_add_f16_e32 v61, v66, v6
	v_add_f16_e32 v6, v6, v53
	v_add_f16_e32 v64, v35, v10
	v_add_f16_e32 v67, v10, v11
	v_sub_f16_e32 v69, v56, v58
	v_add_f16_e32 v73, v68, v56
	v_add_f16_e32 v56, v56, v58
	;; [unrolled: 1-line block ×3, first 2 shown]
	v_sub_f16_e32 v82, v60, v90
	v_add_f16_e32 v84, v72, v60
	v_add_f16_e32 v60, v60, v90
	;; [unrolled: 1-line block ×3, first 2 shown]
	v_sub_f16_e64 v92, v94, v138
	v_add_f16_e64 v137, v75, v94
	v_add_f16_e64 v94, v94, v138
	v_add_f16_e32 v47, v8, v0
	v_sub_f16_e32 v0, v0, v3
	v_add_f16_e32 v55, v9, v5
	v_fma_f16 v8, -0.5, v48, v8
	v_fmac_f16_e32 v62, -0.5, v1
	v_sub_f16_e32 v5, v5, v7
	v_fmac_f16_e32 v9, -0.5, v57
	v_fmac_f16_e32 v66, -0.5, v6
	v_sub_f16_e32 v10, v10, v11
	v_add_f16_e32 v6, v64, v11
	v_fma_f16 v11, -0.5, v67, v35
	v_fmac_f16_e32 v68, -0.5, v56
	v_add_f16_e32 v77, v36, v37
	v_sub_f16_e32 v37, v37, v39
	v_fmac_f16_e32 v36, -0.5, v80
	v_fmac_f16_e32 v72, -0.5, v60
	v_add_f16_e32 v86, v2, v38
	v_sub_f16_e32 v38, v38, v40
	v_fmac_f16_e32 v2, -0.5, v88
	v_fmac_f16_e32 v75, -0.5, v94
	v_add_f16_e32 v3, v47, v3
	v_add_f16_e32 v4, v54, v4
	;; [unrolled: 1-line block ×5, first 2 shown]
	v_fmamk_f16 v53, v52, 0x3aee, v8
	v_fmac_f16_e32 v8, 0xbaee, v52
	v_fmamk_f16 v52, v0, 0xbaee, v62
	v_fmac_f16_e32 v62, 0x3aee, v0
	v_fmamk_f16 v0, v59, 0x3aee, v9
	v_fmamk_f16 v54, v5, 0xbaee, v66
	v_fmac_f16_e32 v66, 0x3aee, v5
	v_fmamk_f16 v5, v69, 0x3aee, v11
	v_fmamk_f16 v55, v10, 0xbaee, v68
	v_add_f16_e32 v39, v77, v39
	v_add_f16_e32 v47, v84, v90
	v_fmac_f16_e32 v68, 0x3aee, v10
	v_fmamk_f16 v10, v82, 0x3aee, v36
	v_fmamk_f16 v56, v37, 0xbaee, v72
	v_add_f16_e32 v40, v86, v40
	v_add_f16_e64 v48, v137, v138
	v_fmac_f16_e32 v9, 0xbaee, v59
	v_fmac_f16_e32 v11, 0xbaee, v69
	v_fmac_f16_e32 v36, 0xbaee, v82
	v_fmac_f16_e32 v72, 0x3aee, v37
	v_fmamk_f16 v37, v92, 0x3aee, v2
	v_fmac_f16_e32 v2, 0xbaee, v92
	v_fmamk_f16 v57, v38, 0xbaee, v75
	v_fmac_f16_e32 v75, 0x3aee, v38
	v_pack_b32_f16 v3, v3, v4
	v_pack_b32_f16 v4, v6, v35
	;; [unrolled: 1-line block ×15, first 2 shown]
	ds_store_2addr_b32 v151, v3, v35 offset0:102 offset1:119
	ds_store_2addr_b32 v110, v1, v0 offset0:153 offset1:170
	;; [unrolled: 1-line block ×5, first 2 shown]
	ds_store_b32 v151, v8 offset:544
	ds_store_b32 v110, v9 offset:748
	;; [unrolled: 1-line block ×5, first 2 shown]
	global_wb scope:SCOPE_SE
	s_wait_dscnt 0x0
	s_barrier_signal -1
	s_barrier_wait -1
	global_inv scope:SCOPE_SE
	s_clause 0x5
	global_load_b128 v[4:7], v[42:43], off offset:136
	global_load_b64 v[35:36], v[42:43], off offset:152
	global_load_b128 v[8:11], v[42:43], off offset:544
	global_load_b64 v[37:38], v[42:43], off offset:560
	;; [unrolled: 2-line block ×3, first 2 shown]
	ds_load_2addr_b32 v[47:48], v65 offset1:17
	ds_load_2addr_b32 v[42:43], v65 offset0:34 offset1:51
	ds_load_2addr_b32 v[50:51], v65 offset0:102 offset1:119
	;; [unrolled: 1-line block ×9, first 2 shown]
	ds_load_b32 v45, v65 offset:1360
	v_add_nc_u32_e32 v59, 0x200, v65
	v_add_nc_u32_e32 v58, 0x400, v162
	s_wait_dscnt 0xa
	v_lshrrev_b32_e32 v62, 16, v47
	s_wait_dscnt 0x9
	v_lshrrev_b32_e32 v64, 16, v43
	;; [unrolled: 2-line block ×8, first 2 shown]
	v_lshrrev_b32_e32 v77, 16, v51
	s_wait_dscnt 0x2
	v_lshrrev_b32_e32 v80, 16, v158
	v_lshrrev_b32_e32 v82, 16, v55
	s_wait_dscnt 0x1
	v_lshrrev_b32_e32 v84, 16, v160
	v_lshrrev_b32_e32 v86, 16, v61
	v_lshrrev_b32_e32 v90, 16, v157
	v_lshrrev_b32_e32 v92, 16, v52
	v_lshrrev_b32_e32 v164, 16, v161
	s_wait_dscnt 0x0
	v_lshrrev_b32_e32 v165, 16, v45
	v_lshrrev_b32_e32 v94, 16, v159
	;; [unrolled: 1-line block ×5, first 2 shown]
	s_wait_loadcnt 0x5
	v_lshrrev_b32_e32 v148, 16, v4
	v_lshrrev_b32_e32 v147, 16, v5
	s_wait_loadcnt 0x4
	v_lshrrev_b32_e32 v145, 16, v35
	v_lshrrev_b32_e32 v144, 16, v36
	v_lshrrev_b32_e32 v146, 16, v6
	v_lshrrev_b32_e32 v121, 16, v7
	s_wait_loadcnt 0x3
	v_lshrrev_b32_e32 v143, 16, v8
	v_lshrrev_b32_e32 v135, 16, v9
	v_lshrrev_b32_e32 v126, 16, v10
	v_lshrrev_b32_e32 v116, 16, v11
	s_wait_loadcnt 0x2
	v_lshrrev_b32_e32 v115, 16, v37
	v_lshrrev_b32_e32 v142, 16, v38
	s_wait_loadcnt 0x1
	v_lshrrev_b32_e32 v154, 16, v0
	v_lshrrev_b32_e32 v153, 16, v1
	s_wait_loadcnt 0x0
	v_lshrrev_b32_e32 v137, 16, v39
	v_lshrrev_b32_e32 v136, 16, v40
	v_lshrrev_b32_e32 v152, 16, v2
	v_lshrrev_b32_e32 v138, 16, v3
	v_mul_f16_e64 v166, v64, v148
	v_mul_f16_e64 v167, v43, v148
	;; [unrolled: 1-line block ×34, first 2 shown]
	v_fma_f16 v43, v43, v4, -v166
	v_fmac_f16_e64 v167, v64, v4
	v_fma_f16 v50, v50, v5, -v168
	v_fmac_f16_e64 v169, v66, v5
	;; [unrolled: 2-line block ×4, first 2 shown]
	v_mul_f16_e64 v195, v159, v152
	v_mul_f16_e64 v197, v56, v138
	v_fma_f16 v53, v53, v6, -v170
	v_fmac_f16_e64 v171, v67, v6
	v_fma_f16 v54, v54, v7, -v172
	v_fmac_f16_e64 v173, v68, v7
	;; [unrolled: 2-line block ×12, first 2 shown]
	v_fma_f16 v69, v159, v2, -v194
	v_fma_f16 v56, v56, v3, -v196
	v_add_f16_e32 v75, v43, v60
	v_add_f16_e64 v77, v167, v177
	v_add_f16_e32 v80, v50, v57
	v_add_f16_e64 v82, v169, v175
	v_fmac_f16_e64 v195, v94, v2
	v_fmac_f16_e64 v197, v163, v3
	v_sub_f16_e32 v43, v43, v60
	v_sub_f16_e64 v60, v167, v177
	v_sub_f16_e32 v50, v50, v57
	v_sub_f16_e64 v57, v169, v175
	v_add_f16_e32 v84, v53, v54
	v_add_f16_e64 v86, v171, v173
	v_sub_f16_e32 v53, v54, v53
	v_sub_f16_e64 v54, v173, v171
	v_add_f16_e32 v90, v64, v61
	v_add_f16_e64 v92, v179, v189
	;; [unrolled: 4-line block ×3, first 2 shown]
	v_sub_f16_e32 v51, v51, v67
	v_sub_f16_e64 v67, v181, v187
	v_add_f16_e64 v157, v66, v55
	v_sub_f16_e32 v55, v55, v66
	v_sub_f16_e64 v66, v185, v183
	v_add_f16_e64 v159, v68, v45
	v_add_f16_e64 v160, v191, v201
	;; [unrolled: 1-line block ×4, first 2 shown]
	v_sub_f16_e32 v45, v68, v45
	v_sub_f16_e32 v52, v52, v72
	v_add_f16_e64 v164, v69, v56
	v_sub_f16_e32 v56, v56, v69
	v_add_f16_e64 v166, v80, v75
	v_add_f16_e64 v167, v82, v77
	;; [unrolled: 1-line block ×3, first 2 shown]
	v_sub_f16_e64 v68, v191, v201
	v_sub_f16_e64 v72, v193, v199
	;; [unrolled: 1-line block ×3, first 2 shown]
	v_add_f16_e64 v165, v195, v197
	v_sub_f16_e64 v168, v80, v75
	v_sub_f16_e64 v169, v82, v77
	v_sub_f16_e32 v75, v75, v84
	v_sub_f16_e32 v77, v77, v86
	;; [unrolled: 1-line block ×4, first 2 shown]
	v_add_f16_e64 v170, v53, v50
	v_add_f16_e64 v171, v54, v57
	v_sub_f16_e64 v172, v53, v50
	v_sub_f16_e64 v173, v54, v57
	v_sub_f16_e32 v50, v50, v43
	v_sub_f16_e32 v57, v57, v60
	v_add_f16_e64 v174, v94, v90
	v_add_f16_e64 v175, v156, v92
	;; [unrolled: 1-line block ×4, first 2 shown]
	v_sub_f16_e64 v180, v55, v51
	v_sub_f16_e64 v181, v66, v67
	v_sub_f16_e32 v51, v51, v61
	v_sub_f16_e32 v67, v67, v64
	v_add_f16_e64 v182, v161, v159
	v_add_f16_e64 v183, v163, v160
	v_sub_f16_e64 v176, v94, v90
	v_sub_f16_e64 v90, v90, v157
	;; [unrolled: 1-line block ×3, first 2 shown]
	v_add_f16_e64 v186, v56, v52
	v_sub_f16_e64 v188, v56, v52
	v_sub_f16_e32 v52, v52, v45
	v_add_f16_e64 v84, v84, v166
	v_add_f16_e64 v86, v86, v167
	v_sub_f16_e64 v177, v156, v92
	v_sub_f16_e64 v92, v92, v158
	;; [unrolled: 1-line block ×3, first 2 shown]
	v_add_f16_e64 v187, v69, v72
	v_sub_f16_e64 v189, v69, v72
	v_sub_f16_e32 v72, v72, v68
	v_sub_f16_e32 v53, v43, v53
	;; [unrolled: 1-line block ×5, first 2 shown]
	v_sub_f16_e64 v184, v161, v159
	v_sub_f16_e64 v185, v163, v160
	;; [unrolled: 1-line block ×6, first 2 shown]
	v_add_f16_e64 v43, v170, v43
	v_add_f16_e64 v60, v171, v60
	v_mul_f16_e32 v75, 0x3a52, v75
	v_mul_f16_e32 v77, 0x3a52, v77
	v_mul_f16_e64 v166, 0x2b26, v80
	v_mul_f16_e64 v167, 0x2b26, v82
	v_mul_f16_e64 v170, 0xb846, v172
	v_mul_f16_e64 v171, 0xb846, v173
	v_mul_f16_e64 v172, 0x3b00, v50
	v_mul_f16_e64 v173, 0x3b00, v57
	v_add_f16_e64 v157, v157, v174
	v_add_f16_e64 v158, v158, v175
	;; [unrolled: 1-line block ×4, first 2 shown]
	v_mul_f16_e64 v178, 0xb846, v180
	v_mul_f16_e64 v179, 0xb846, v181
	;; [unrolled: 1-line block ×4, first 2 shown]
	v_add_f16_e64 v164, v164, v182
	v_add_f16_e64 v165, v165, v183
	v_sub_f16_e32 v56, v45, v56
	v_mul_f16_e32 v90, 0x3a52, v90
	v_mul_f16_e64 v174, 0x2b26, v94
	v_add_f16_e64 v45, v186, v45
	v_mul_f16_e64 v186, 0xb846, v188
	v_mul_f16_e64 v188, 0x3b00, v52
	v_add_f16_e32 v47, v47, v84
	v_add_f16_e32 v62, v62, v86
	v_sub_f16_e32 v69, v68, v69
	v_mul_f16_e32 v92, 0x3a52, v92
	v_mul_f16_e64 v175, 0x2b26, v156
	v_add_f16_e64 v68, v187, v68
	v_mul_f16_e64 v187, 0xb846, v189
	v_mul_f16_e64 v189, 0x3b00, v72
	;; [unrolled: 1-line block ×6, first 2 shown]
	v_fmamk_f16 v80, v80, 0x2b26, v75
	v_fmamk_f16 v82, v82, 0x2b26, v77
	v_fma_f16 v166, v168, 0x39e0, -v166
	v_fma_f16 v167, v169, 0x39e0, -v167
	;; [unrolled: 1-line block ×4, first 2 shown]
	v_fma_f16 v168, 0x3574, v53, v170
	v_fma_f16 v169, 0x3574, v54, v171
	v_fma_f16 v50, v50, 0x3b00, -v170
	v_fma_f16 v57, v57, 0x3b00, -v171
	;; [unrolled: 1-line block ×4, first 2 shown]
	v_add_f16_e64 v48, v48, v157
	v_add_f16_e64 v73, v73, v158
	v_fma_f16 v172, 0x3574, v55, v178
	v_fma_f16 v173, 0x3574, v66, v179
	v_fma_f16 v51, v51, 0x3b00, -v178
	v_fma_f16 v67, v67, 0x3b00, -v179
	;; [unrolled: 1-line block ×4, first 2 shown]
	v_add_f16_e64 v42, v42, v164
	v_add_f16_e64 v88, v88, v165
	v_fmamk_f16 v94, v94, 0x2b26, v90
	v_fma_f16 v170, v176, 0x39e0, -v174
	v_fma_f16 v90, v176, 0xb9e0, -v90
	v_fma_f16 v176, 0x3574, v56, v186
	v_fma_f16 v52, v52, 0x3b00, -v186
	v_fma_f16 v56, v56, 0xb574, -v188
	v_fmamk_f16 v84, v84, 0xbcab, v47
	v_fmamk_f16 v86, v86, 0xbcab, v62
	v_fma_f16 v156, 0x2b26, v156, v92
	v_fma_f16 v171, v177, 0x39e0, -v175
	v_fma_f16 v92, v177, 0xb9e0, -v92
	v_fma_f16 v177, 0x3574, v69, v187
	v_fma_f16 v72, v72, 0x3b00, -v187
	v_fma_f16 v69, v69, 0xb574, -v189
	v_fma_f16 v161, 0x2b26, v161, v159
	v_fma_f16 v163, 0x2b26, v163, v160
	v_fma_f16 v174, v184, 0x39e0, -v182
	v_fma_f16 v175, v185, 0x39e0, -v183
	;; [unrolled: 1-line block ×4, first 2 shown]
	v_fmac_f16_e64 v168, 0x370e, v43
	v_fmac_f16_e64 v169, 0x370e, v60
	v_fmac_f16_e32 v50, 0x370e, v43
	v_fmac_f16_e32 v57, 0x370e, v60
	;; [unrolled: 1-line block ×4, first 2 shown]
	v_fma_f16 v43, 0xbcab, v157, v48
	v_fma_f16 v60, 0xbcab, v158, v73
	v_fmac_f16_e64 v172, 0x370e, v61
	v_fmac_f16_e64 v173, 0x370e, v64
	v_fmac_f16_e32 v51, 0x370e, v61
	v_fmac_f16_e32 v67, 0x370e, v64
	v_fmac_f16_e32 v55, 0x370e, v61
	v_fmac_f16_e32 v66, 0x370e, v64
	v_fma_f16 v61, 0xbcab, v164, v42
	v_fma_f16 v64, 0xbcab, v165, v88
	v_fmac_f16_e64 v176, 0x370e, v45
	v_fmac_f16_e32 v52, 0x370e, v45
	v_fmac_f16_e32 v56, 0x370e, v45
	v_pack_b32_f16 v62, v47, v62
	v_add_f16_e32 v45, v80, v84
	v_add_f16_e32 v47, v82, v86
	;; [unrolled: 1-line block ×4, first 2 shown]
	v_fmac_f16_e64 v177, 0x370e, v68
	v_fmac_f16_e32 v72, 0x370e, v68
	v_fmac_f16_e32 v69, 0x370e, v68
	v_pack_b32_f16 v68, v48, v73
	v_add_f16_e64 v48, v166, v84
	v_add_f16_e64 v73, v167, v86
	v_pack_b32_f16 v42, v42, v88
	v_add_f16_e32 v80, v94, v43
	v_add_f16_e64 v82, v156, v60
	v_add_f16_e64 v84, v170, v43
	;; [unrolled: 1-line block ×3, first 2 shown]
	v_add_f16_e32 v43, v90, v43
	v_add_f16_e32 v60, v92, v60
	v_add_f16_e64 v88, v161, v61
	v_add_f16_e64 v90, v163, v64
	v_add_f16_e64 v92, v174, v61
	v_add_f16_e64 v94, v175, v64
	v_add_f16_e64 v61, v159, v61
	v_add_f16_e64 v64, v160, v64
	v_add_f16_e64 v156, v169, v45
	v_sub_f16_e64 v163, v47, v168
	v_add_f16_e64 v164, v54, v75
	v_sub_f16_e64 v165, v77, v53
	v_sub_f16_e64 v166, v48, v57
	v_add_f16_e64 v167, v50, v73
	v_add_f16_e32 v57, v57, v48
	v_sub_f16_e32 v50, v73, v50
	v_sub_f16_e32 v54, v75, v54
	v_add_f16_e32 v53, v53, v77
	v_sub_f16_e64 v73, v45, v169
	v_add_f16_e64 v75, v168, v47
	v_add_f16_e64 v169, v66, v43
	v_sub_f16_e64 v170, v60, v55
	v_sub_f16_e64 v171, v84, v67
	v_add_f16_e64 v174, v51, v86
	v_add_f16_e32 v67, v67, v84
	v_sub_f16_e32 v51, v86, v51
	v_sub_f16_e32 v43, v43, v66
	v_add_f16_e32 v55, v55, v60
	v_sub_f16_e64 v60, v80, v173
	v_add_f16_e64 v66, v172, v82
	v_add_f16_e32 v84, v69, v61
	v_sub_f16_e32 v86, v64, v56
	v_sub_f16_e64 v157, v92, v72
	v_add_f16_e64 v158, v52, v94
	v_add_f16_e32 v47, v72, v92
	v_sub_f16_e64 v159, v94, v52
	v_sub_f16_e32 v48, v61, v69
	v_add_f16_e64 v161, v56, v64
	v_sub_f16_e64 v45, v88, v177
	v_add_f16_e64 v160, v176, v90
	v_add_f16_e64 v77, v173, v80
	v_sub_f16_e64 v168, v82, v172
	v_add_f16_e64 v80, v177, v88
	v_sub_f16_e64 v82, v90, v176
	v_pack_b32_f16 v52, v156, v163
	v_pack_b32_f16 v56, v164, v165
	v_pack_b32_f16 v61, v166, v167
	v_pack_b32_f16 v50, v57, v50
	v_pack_b32_f16 v53, v54, v53
	v_pack_b32_f16 v54, v73, v75
	v_pack_b32_f16 v64, v169, v170
	v_pack_b32_f16 v69, v171, v174
	v_pack_b32_f16 v51, v67, v51
	v_pack_b32_f16 v43, v43, v55
	v_pack_b32_f16 v55, v60, v66
	v_pack_b32_f16 v66, v84, v86
	v_pack_b32_f16 v67, v157, v158
	v_pack_b32_f16 v72, v47, v159
	v_pack_b32_f16 v73, v48, v161
	v_pack_b32_f16 v75, v45, v160
	v_pack_b32_f16 v57, v77, v168
	v_pack_b32_f16 v60, v80, v82
	ds_store_2addr_b32 v65, v52, v56 offset0:51 offset1:102
	ds_store_2addr_b32 v65, v61, v50 offset0:153 offset1:204
	;; [unrolled: 1-line block ×3, first 2 shown]
	ds_store_2addr_b32 v65, v62, v68 offset1:17
	ds_store_b32 v65, v42 offset:136
	ds_store_2addr_b32 v162, v57, v60 offset0:68 offset1:85
	ds_store_2addr_b32 v162, v64, v66 offset0:119 offset1:136
	;; [unrolled: 1-line block ×6, first 2 shown]
	global_wb scope:SCOPE_SE
	s_wait_dscnt 0x0
	s_barrier_signal -1
	s_barrier_wait -1
	global_inv scope:SCOPE_SE
	s_clause 0x10
	global_load_b32 v58, v[12:13], off offset:1428
	global_load_b32 v62, v49, s[0:1] offset:84
	global_load_b32 v64, v49, s[0:1] offset:168
	global_load_b32 v66, v49, s[0:1] offset:252
	global_load_b32 v67, v49, s[0:1] offset:336
	global_load_b32 v68, v49, s[0:1] offset:420
	global_load_b32 v69, v49, s[0:1] offset:504
	global_load_b32 v72, v49, s[0:1] offset:588
	global_load_b32 v73, v49, s[0:1] offset:672
	global_load_b32 v75, v49, s[0:1] offset:756
	global_load_b32 v77, v49, s[0:1] offset:840
	global_load_b32 v80, v49, s[0:1] offset:924
	global_load_b32 v82, v49, s[0:1] offset:1008
	global_load_b32 v84, v49, s[0:1] offset:1092
	global_load_b32 v86, v49, s[0:1] offset:1176
	global_load_b32 v88, v49, s[0:1] offset:1260
	global_load_b32 v90, v49, s[0:1] offset:1344
	ds_load_2addr_b32 v[42:43], v65 offset1:21
	ds_load_2addr_b32 v[50:51], v65 offset0:42 offset1:63
	ds_load_2addr_b32 v[52:53], v65 offset0:84 offset1:105
	;; [unrolled: 1-line block ×7, first 2 shown]
	ds_load_b32 v92, v65 offset:1344
	s_wait_dscnt 0x8
	v_lshrrev_b32_e32 v94, 16, v42
	v_lshrrev_b32_e32 v156, 16, v43
	s_wait_dscnt 0x7
	v_lshrrev_b32_e32 v167, 16, v50
	v_lshrrev_b32_e32 v168, 16, v51
	;; [unrolled: 3-line block ×8, first 2 shown]
	s_wait_dscnt 0x0
	v_lshrrev_b32_e32 v181, 16, v92
	s_wait_loadcnt 0x10
	v_lshrrev_b32_e32 v182, 16, v58
	s_wait_loadcnt 0xf
	v_lshrrev_b32_e32 v183, 16, v62
	s_wait_loadcnt 0xe
	v_lshrrev_b32_e32 v184, 16, v64
	s_wait_loadcnt 0xd
	v_lshrrev_b32_e32 v185, 16, v66
	s_wait_loadcnt 0xc
	v_lshrrev_b32_e32 v186, 16, v67
	s_wait_loadcnt 0xb
	v_lshrrev_b32_e32 v187, 16, v68
	s_wait_loadcnt 0xa
	v_lshrrev_b32_e32 v188, 16, v69
	s_wait_loadcnt 0x9
	v_lshrrev_b32_e32 v189, 16, v72
	s_wait_loadcnt 0x8
	v_lshrrev_b32_e32 v190, 16, v73
	s_wait_loadcnt 0x7
	v_lshrrev_b32_e32 v191, 16, v75
	s_wait_loadcnt 0x6
	v_lshrrev_b32_e32 v192, 16, v77
	s_wait_loadcnt 0x5
	v_lshrrev_b32_e32 v193, 16, v80
	s_wait_loadcnt 0x4
	v_lshrrev_b32_e32 v194, 16, v82
	s_wait_loadcnt 0x3
	v_lshrrev_b32_e32 v195, 16, v84
	s_wait_loadcnt 0x2
	v_lshrrev_b32_e32 v196, 16, v86
	s_wait_loadcnt 0x1
	v_lshrrev_b32_e32 v197, 16, v88
	s_wait_loadcnt 0x0
	v_lshrrev_b32_e32 v198, 16, v90
	v_mul_f16_e64 v199, v94, v182
	v_mul_f16_e64 v182, v42, v182
	;; [unrolled: 1-line block ×34, first 2 shown]
	v_fma_f16 v42, v42, v58, -v199
	v_fmac_f16_e64 v182, v94, v58
	v_fma_f16 v43, v43, v62, -v200
	v_fmac_f16_e64 v183, v156, v62
	;; [unrolled: 2-line block ×17, first 2 shown]
	v_pack_b32_f16 v42, v42, v182
	v_pack_b32_f16 v43, v43, v183
	;; [unrolled: 1-line block ×17, first 2 shown]
	ds_store_2addr_b32 v65, v42, v43 offset1:21
	ds_store_2addr_b32 v65, v50, v51 offset0:42 offset1:63
	ds_store_2addr_b32 v65, v52, v53 offset0:84 offset1:105
	;; [unrolled: 1-line block ×7, first 2 shown]
	ds_store_b32 v65, v67 offset:1344
	s_and_saveexec_b32 s2, vcc_lo
	s_cbranch_execz .LBB0_9
; %bb.8:
	s_wait_alu 0xfffe
	v_add_co_u32 v42, s0, s0, v49
	s_wait_alu 0xf1ff
	v_add_co_ci_u32_e64 v43, null, s1, 0, s0
	s_clause 0x10
	global_load_b32 v62, v[42:43], off offset:68
	global_load_b32 v64, v[42:43], off offset:152
	global_load_b32 v66, v[42:43], off offset:236
	global_load_b32 v67, v[42:43], off offset:320
	global_load_b32 v68, v[42:43], off offset:404
	global_load_b32 v69, v[42:43], off offset:488
	global_load_b32 v72, v[42:43], off offset:572
	global_load_b32 v73, v[42:43], off offset:656
	global_load_b32 v75, v[42:43], off offset:740
	global_load_b32 v77, v[42:43], off offset:824
	global_load_b32 v80, v[42:43], off offset:908
	global_load_b32 v82, v[42:43], off offset:992
	global_load_b32 v84, v[42:43], off offset:1076
	global_load_b32 v86, v[42:43], off offset:1160
	global_load_b32 v88, v[42:43], off offset:1244
	global_load_b32 v90, v[42:43], off offset:1328
	global_load_b32 v92, v[42:43], off offset:1412
	ds_load_2addr_b32 v[42:43], v65 offset0:17 offset1:38
	ds_load_2addr_b32 v[49:50], v65 offset0:59 offset1:80
	ds_load_2addr_b32 v[51:52], v65 offset0:101 offset1:122
	ds_load_2addr_b32 v[53:54], v65 offset0:143 offset1:164
	ds_load_2addr_b32 v[55:56], v65 offset0:185 offset1:206
	ds_load_2addr_b32 v[57:58], v65 offset0:227 offset1:248
	ds_load_2addr_b32 v[60:61], v63 offset0:13 offset1:34
	ds_load_2addr_b32 v[163:164], v63 offset0:55 offset1:76
	ds_load_b32 v94, v65 offset:1412
	s_wait_dscnt 0x8
	v_lshrrev_b32_e32 v156, 16, v42
	v_lshrrev_b32_e32 v165, 16, v43
	s_wait_dscnt 0x7
	v_lshrrev_b32_e32 v166, 16, v49
	v_lshrrev_b32_e32 v167, 16, v50
	;; [unrolled: 3-line block ×8, first 2 shown]
	s_wait_dscnt 0x0
	v_lshrrev_b32_e32 v180, 16, v94
	s_wait_loadcnt 0x10
	v_lshrrev_b32_e32 v181, 16, v62
	s_wait_loadcnt 0xf
	;; [unrolled: 2-line block ×17, first 2 shown]
	v_lshrrev_b32_e32 v197, 16, v92
	v_mul_f16_e64 v198, v156, v181
	v_mul_f16_e64 v181, v42, v181
	;; [unrolled: 1-line block ×34, first 2 shown]
	v_fma_f16 v42, v42, v62, -v198
	v_fmac_f16_e64 v181, v156, v62
	v_fma_f16 v43, v43, v64, -v199
	v_fmac_f16_e64 v182, v165, v64
	;; [unrolled: 2-line block ×17, first 2 shown]
	v_pack_b32_f16 v42, v42, v181
	v_pack_b32_f16 v43, v43, v182
	;; [unrolled: 1-line block ×17, first 2 shown]
	ds_store_2addr_b32 v65, v42, v43 offset0:17 offset1:38
	ds_store_2addr_b32 v65, v49, v50 offset0:59 offset1:80
	;; [unrolled: 1-line block ×8, first 2 shown]
	ds_store_b32 v65, v66 offset:1412
.LBB0_9:
	s_wait_alu 0xfffe
	s_or_b32 exec_lo, exec_lo, s2
	global_wb scope:SCOPE_SE
	s_wait_dscnt 0x0
	s_barrier_signal -1
	s_barrier_wait -1
	global_inv scope:SCOPE_SE
	ds_load_2addr_b32 v[49:50], v65 offset1:21
	ds_load_2addr_b32 v[61:62], v65 offset0:42 offset1:63
	ds_load_2addr_b32 v[57:58], v65 offset0:84 offset1:105
	;; [unrolled: 1-line block ×7, first 2 shown]
	ds_load_b32 v163, v65 offset:1344
	v_lshrrev_b32_e32 v43, 16, v118
	s_and_saveexec_b32 s0, vcc_lo
	s_cbranch_execz .LBB0_11
; %bb.10:
	v_lshl_add_u32 v15, v96, 2, v70
	ds_load_b32 v157, v65 offset:68
	ds_load_2addr_b32 v[47:48], v15 offset0:38 offset1:59
	ds_load_2addr_b32 v[45:46], v15 offset0:80 offset1:101
	;; [unrolled: 1-line block ×3, first 2 shown]
	v_add_nc_u32_e32 v16, 0x200, v15
	v_add_nc_u32_e32 v66, 0x400, v15
	ds_load_2addr_b32 v[41:42], v15 offset0:164 offset1:185
	ds_load_2addr_b32 v[43:44], v15 offset0:206 offset1:227
	ds_load_2addr_b32 v[21:22], v16 offset0:120 offset1:141
	ds_load_2addr_b32 v[17:18], v66 offset0:34 offset1:55
	ds_load_2addr_b32 v[15:16], v66 offset0:76 offset1:97
	s_wait_dscnt 0x8
	v_lshrrev_b32_e32 v158, 16, v157
	s_wait_dscnt 0x7
	v_lshrrev_b32_e32 v159, 16, v47
	v_lshrrev_b32_e32 v161, 16, v48
	s_wait_dscnt 0x6
	v_lshrrev_b32_e32 v160, 16, v45
	;; [unrolled: 3-line block ×8, first 2 shown]
	v_bfi_b32 v155, 0xffff, v42, v16
.LBB0_11:
	s_wait_alu 0xfffe
	s_or_b32 exec_lo, exec_lo, s0
	s_wait_dscnt 0x8
	v_pk_add_f16 v66, v49, v50
	s_wait_dscnt 0x0
	v_pk_add_f16 v164, v50, v163 neg_lo:[0,1] neg_hi:[0,1]
	v_pk_add_f16 v165, v163, v50
	v_lshrrev_b32_e32 v67, 16, v49
	v_add_nc_u32_e32 v149, 0x44, v162
	v_pk_add_f16 v66, v66, v61
	v_lshrrev_b32_e32 v68, 16, v164
	v_lshrrev_b32_e32 v69, 16, v165
	v_add_nc_u32_e32 v42, 0x88, v162
	global_wb scope:SCOPE_SE
	v_pk_add_f16 v50, v66, v62
	v_mul_f16_e32 v75, 0xbb29, v68
	v_mul_f16_e32 v73, 0x39e9, v69
	v_pk_mul_f16 v66, 0xb5c8, v164 op_sel_hi:[0,1]
	v_mul_f16_e32 v77, 0x3722, v69
	v_pk_add_f16 v72, v50, v57
	v_fma_f16 v167, 0x3722, v165, v75
	v_fma_f16 v166, 0x3964, v164, v73
	v_pk_fma_f16 v50, 0x3b76, v165, v66 op_sel:[0,0,1] op_sel_hi:[0,1,0]
	v_pk_fma_f16 v162, 0x3b76, v165, v66 op_sel:[0,0,1] op_sel_hi:[0,1,0] neg_lo:[0,0,1] neg_hi:[0,0,1]
	v_pk_add_f16 v72, v72, v58
	v_mul_f16_e32 v66, 0xb964, v68
	v_add_f16_e64 v175, v67, v166
	v_pk_add_f16 v166, v61, v64 neg_lo:[0,1] neg_hi:[0,1]
	v_add_f16_e64 v176, v49, v167
	v_pk_add_f16 v72, v72, v53
	v_pk_add_f16 v167, v64, v61
	v_mul_f16_e32 v82, 0x2de8, v69
	v_lshrrev_b32_e32 v178, 16, v166
	v_mul_f16_e32 v86, 0xb461, v69
	v_pk_add_f16 v72, v72, v54
	v_mul_f16_e32 v88, 0xba62, v68
	v_mul_f16_e32 v90, 0xb8d2, v69
	v_bfi_b32 v92, 0xffff, v50, v162
	v_fma_f16 v94, 0x39e9, v165, v66
	v_pk_add_f16 v72, v72, v51
	v_mul_f16_e32 v69, 0xbacd, v69
	v_mul_f16_e64 v179, 0xbbf7, v178
	v_lshrrev_b32_e32 v180, 16, v167
	v_fma_f16 v66, v165, 0x39e9, -v66
	v_pk_add_f16 v72, v72, v52
	v_fmac_f16_e64 v73, 0xb964, v164
	v_fma_f16 v168, 0x3b29, v164, v77
	v_fmac_f16_e64 v77, 0xbb29, v164
	v_fma_f16 v170, 0x3bf7, v164, v82
	v_pk_add_f16 v72, v72, v55
	v_fmac_f16_e64 v82, 0xbbf7, v164
	v_fma_f16 v172, 0x3bb2, v164, v86
	v_fmac_f16_e64 v86, 0xbbb2, v164
	v_fma_f16 v173, 0xb8d2, v165, v88
	v_pk_add_f16 v72, v72, v56
	v_fma_f16 v174, 0x3a62, v164, v90
	v_pk_add_f16 v92, v49, v92
	v_add_f16_e32 v94, v49, v94
	v_fmac_f16_e64 v90, 0xba62, v164
	v_pk_add_f16 v72, v72, v59
	v_fma_f16 v177, 0x3836, v164, v69
	v_fmac_f16_e64 v69, 0xb836, v164
	v_fma_f16 v182, 0x2de8, v167, v179
	v_mul_f16_e64 v183, 0x2de8, v180
	v_pk_add_f16 v72, v72, v60
	v_mul_f16_e32 v80, 0xbbf7, v68
	v_add_f16_e32 v66, v49, v66
	v_add_f16_e32 v73, v67, v73
	v_add_f16_e64 v168, v67, v168
	v_pk_add_f16 v72, v72, v63
	v_add_f16_e32 v77, v67, v77
	v_add_f16_e64 v170, v67, v170
	v_add_f16_e32 v82, v67, v82
	v_add_f16_e64 v172, v67, v172
	v_pk_add_f16 v72, v72, v64
	v_pk_mul_f16 v64, 0xb964, v166 op_sel_hi:[0,1]
	v_add_f16_e32 v86, v67, v86
	v_add_f16_e32 v90, v67, v90
	v_add_f16_e64 v177, v67, v177
	v_pk_add_f16 v163, v72, v163
	v_pk_fma_f16 v61, 0x39e9, v167, v64 op_sel:[0,0,1] op_sel_hi:[0,1,0]
	v_pk_fma_f16 v64, 0x39e9, v167, v64 op_sel:[0,0,1] op_sel_hi:[0,1,0] neg_lo:[0,0,1] neg_hi:[0,0,1]
	v_fma_f16 v72, v165, 0xb8d2, -v88
	v_add_f16_e64 v88, v49, v173
	v_add_f16_e64 v173, v67, v174
	v_add_f16_e32 v67, v67, v69
	v_bfi_b32 v181, 0xffff, v61, v64
	v_fma_f16 v179, v167, 0x2de8, -v179
	v_fma_f16 v75, v165, 0x3722, -v75
	v_fma_f16 v169, 0x2de8, v165, v80
	v_mul_f16_e32 v84, 0xbbb2, v68
	v_pk_add_f16 v69, v181, v92
	v_add_f16_e64 v92, v182, v94
	v_fma_f16 v94, 0x3bf7, v166, v183
	v_mul_f16_e64 v181, 0xba62, v178
	v_fmac_f16_e64 v183, 0xbbf7, v166
	v_mul_f16_e64 v182, 0xb8d2, v180
	v_add_f16_e64 v66, v179, v66
	v_add_f16_e64 v94, v94, v175
	v_fma_f16 v175, 0xb8d2, v167, v181
	v_add_f16_e64 v73, v183, v73
	v_fma_f16 v179, 0x3a62, v166, v182
	v_mul_f16_e64 v183, 0xb1e1, v178
	v_fma_f16 v80, v165, 0x2de8, -v80
	v_add_f16_e32 v75, v49, v75
	v_add_f16_e64 v169, v49, v169
	v_add_f16_e64 v175, v175, v176
	v_fma_f16 v176, v167, 0xb8d2, -v181
	v_fmac_f16_e64 v182, 0xba62, v166
	v_add_f16_e64 v179, v179, v168
	v_fma_f16 v168, 0xbbdd, v167, v183
	v_mul_f16_e64 v181, 0xbbdd, v180
	v_fma_f16 v171, 0xb461, v165, v84
	v_fma_f16 v84, v165, 0xb461, -v84
	v_add_f16_e32 v80, v49, v80
	v_add_f16_e64 v75, v176, v75
	v_add_f16_e64 v77, v182, v77
	v_mul_f16_e64 v176, 0x3836, v178
	v_add_f16_e64 v182, v168, v169
	v_fma_f16 v168, 0x31e1, v166, v181
	v_fma_f16 v169, v167, 0xbbdd, -v183
	v_fmac_f16_e64 v181, 0xb1e1, v166
	v_mul_f16_e64 v184, 0xbacd, v180
	v_add_f16_e64 v171, v49, v171
	v_add_f16_e32 v84, v49, v84
	v_fma_f16 v183, 0xbacd, v167, v176
	v_add_f16_e64 v170, v168, v170
	v_add_f16_e64 v80, v169, v80
	;; [unrolled: 1-line block ×3, first 2 shown]
	v_fma_f16 v168, 0xb836, v166, v184
	v_mul_f16_e64 v169, 0x3bb2, v178
	v_mul_f16_e64 v181, 0xb461, v180
	v_fma_f16 v176, v167, 0xbacd, -v176
	v_add_f16_e32 v72, v49, v72
	v_add_f16_e64 v171, v183, v171
	v_add_f16_e64 v172, v168, v172
	v_fma_f16 v168, 0xb461, v167, v169
	v_fma_f16 v183, 0xbbb2, v166, v181
	v_add_f16_e64 v84, v176, v84
	v_fma_f16 v169, v167, 0xb461, -v169
	v_mul_f16_e64 v176, 0x3b29, v178
	v_mul_f16_e64 v178, 0x3722, v180
	v_mul_f16_e32 v68, 0xb836, v68
	v_add_f16_e64 v88, v168, v88
	v_add_f16_e64 v173, v183, v173
	;; [unrolled: 1-line block ×3, first 2 shown]
	v_pk_add_f16 v168, v62, v63 neg_lo:[0,1] neg_hi:[0,1]
	v_fma_f16 v183, 0xbb29, v166, v178
	v_pk_add_f16 v169, v63, v62
	v_fma_f16 v174, 0xbacd, v165, v68
	v_fma_f16 v68, v165, 0xbacd, -v68
	v_fmac_f16_e64 v181, 0x3bb2, v166
	v_pk_mul_f16 v63, 0xbb29, v168 op_sel_hi:[0,1]
	v_add_f16_e64 v177, v183, v177
	v_lshrrev_b32_e32 v183, 16, v169
	v_add_f16_e64 v174, v49, v174
	v_add_f16_e32 v68, v49, v68
	v_fmac_f16_e64 v184, 0x3836, v166
	v_fma_f16 v180, 0x3722, v167, v176
	v_add_f16_e64 v90, v181, v90
	v_lshrrev_b32_e32 v181, 16, v168
	v_pk_fma_f16 v62, 0x3722, v169, v63 op_sel:[0,0,1] op_sel_hi:[0,1,0]
	v_pk_fma_f16 v63, 0x3722, v169, v63 op_sel:[0,0,1] op_sel_hi:[0,1,0] neg_lo:[0,0,1] neg_hi:[0,0,1]
	v_fma_f16 v176, v167, 0x3722, -v176
	v_fmac_f16_e64 v178, 0x3b29, v166
	v_mul_f16_e64 v186, 0xb8d2, v183
	v_add_f16_e64 v86, v184, v86
	v_add_f16_e64 v174, v180, v174
	v_mul_f16_e64 v180, 0xba62, v181
	v_bfi_b32 v184, 0xffff, v62, v63
	v_add_f16_e64 v68, v176, v68
	v_add_f16_e64 v67, v178, v67
	v_fma_f16 v176, 0x3a62, v168, v186
	v_mul_f16_e64 v178, 0x31e1, v181
	v_fma_f16 v185, 0xb8d2, v169, v180
	v_pk_add_f16 v69, v184, v69
	v_fma_f16 v180, v169, 0xb8d2, -v180
	v_mul_f16_e64 v184, 0xbbdd, v183
	v_add_f16_e64 v94, v176, v94
	v_fma_f16 v176, 0xbbdd, v169, v178
	v_add_f16_e64 v92, v185, v92
	v_add_f16_e64 v66, v180, v66
	v_fma_f16 v180, 0xb1e1, v168, v184
	v_mul_f16_e64 v185, 0x3bb2, v181
	v_add_f16_e64 v175, v176, v175
	v_fma_f16 v176, v169, 0xbbdd, -v178
	v_fmac_f16_e64 v186, 0xba62, v168
	v_fmac_f16_e64 v184, 0x31e1, v168
	v_add_f16_e64 v178, v180, v179
	v_fma_f16 v179, 0xb461, v169, v185
	v_mul_f16_e64 v180, 0xb461, v183
	v_add_f16_e64 v75, v176, v75
	v_mul_f16_e64 v176, 0x3964, v181
	v_add_f16_e64 v73, v186, v73
	v_add_f16_e64 v77, v184, v77
	;; [unrolled: 1-line block ×3, first 2 shown]
	v_fma_f16 v182, 0xbbb2, v168, v180
	v_fma_f16 v184, v169, 0xb461, -v185
	v_fmac_f16_e64 v180, 0x3bb2, v168
	v_fma_f16 v185, 0x39e9, v169, v176
	v_mul_f16_e64 v186, 0x39e9, v183
	v_add_f16_e64 v182, v182, v170
	v_add_f16_e64 v80, v184, v80
	;; [unrolled: 1-line block ×4, first 2 shown]
	v_fma_f16 v170, 0xb964, v168, v186
	v_mul_f16_e64 v171, 0xb5c8, v181
	v_mul_f16_e64 v184, 0x3b76, v183
	v_fma_f16 v176, v169, 0x39e9, -v176
	v_fmac_f16_e64 v186, 0x3964, v168
	v_add_f16_e64 v172, v170, v172
	v_fma_f16 v170, 0x3b76, v169, v171
	v_fma_f16 v185, 0x35c8, v168, v184
	v_add_f16_e64 v84, v176, v84
	v_fma_f16 v171, v169, 0x3b76, -v171
	v_mul_f16_e64 v176, 0xbbf7, v181
	v_add_f16_e64 v88, v170, v88
	v_mul_f16_e64 v181, 0x2de8, v183
	v_pk_add_f16 v170, v57, v60 neg_lo:[0,1] neg_hi:[0,1]
	v_add_f16_e64 v173, v185, v173
	v_add_f16_e64 v72, v171, v72
	v_fmac_f16_e64 v184, 0xb5c8, v168
	v_fma_f16 v185, 0x3bf7, v168, v181
	v_pk_add_f16 v171, v60, v57
	v_pk_mul_f16 v60, 0xbbf7, v170 op_sel_hi:[0,1]
	v_fma_f16 v183, 0x2de8, v169, v176
	v_add_f16_e64 v90, v184, v90
	v_lshrrev_b32_e32 v184, 16, v170
	v_add_f16_e64 v177, v185, v177
	v_pk_fma_f16 v57, 0x2de8, v171, v60 op_sel:[0,0,1] op_sel_hi:[0,1,0]
	v_pk_fma_f16 v60, 0x2de8, v171, v60 op_sel:[0,0,1] op_sel_hi:[0,1,0] neg_lo:[0,0,1] neg_hi:[0,0,1]
	v_lshrrev_b32_e32 v185, 16, v171
	v_add_f16_e64 v86, v186, v86
	v_add_f16_e64 v174, v183, v174
	v_mul_f16_e64 v183, 0xb1e1, v184
	v_fma_f16 v176, v169, 0x2de8, -v176
	v_fmac_f16_e64 v181, 0xbbf7, v168
	v_bfi_b32 v186, 0xffff, v57, v60
	v_mul_f16_e64 v188, 0xbbdd, v185
	v_fma_f16 v187, 0xbbdd, v171, v183
	v_add_f16_e64 v68, v176, v68
	v_add_f16_e64 v67, v181, v67
	v_pk_add_f16 v69, v186, v69
	v_fma_f16 v176, 0x31e1, v170, v188
	v_mul_f16_e64 v181, 0x3bb2, v184
	v_fma_f16 v183, v171, 0xbbdd, -v183
	v_mul_f16_e64 v186, 0xb461, v185
	v_add_f16_e64 v92, v187, v92
	v_add_f16_e64 v94, v176, v94
	v_fma_f16 v176, 0xb461, v171, v181
	v_add_f16_e64 v66, v183, v66
	v_fma_f16 v183, 0xbbb2, v170, v186
	v_mul_f16_e64 v187, 0x35c8, v184
	v_fmac_f16_e64 v188, 0xb1e1, v170
	v_add_f16_e64 v175, v176, v175
	v_fma_f16 v176, v171, 0xb461, -v181
	v_add_f16_e64 v178, v183, v178
	v_fma_f16 v181, 0x3b76, v171, v187
	v_mul_f16_e64 v183, 0x3b76, v185
	v_add_f16_e64 v73, v188, v73
	v_fmac_f16_e64 v186, 0x3bb2, v170
	v_mul_f16_e64 v188, 0x3722, v185
	v_add_f16_e64 v179, v181, v179
	v_fma_f16 v181, 0xb5c8, v170, v183
	v_fmac_f16_e64 v183, 0x35c8, v170
	v_add_f16_e64 v75, v176, v75
	v_add_f16_e64 v77, v186, v77
	v_mul_f16_e64 v176, 0xbb29, v184
	v_fma_f16 v186, v171, 0x3b76, -v187
	v_add_f16_e64 v181, v181, v182
	v_add_f16_e64 v82, v183, v82
	v_fma_f16 v182, 0x3b29, v170, v188
	v_mul_f16_e64 v183, 0xb836, v184
	v_fma_f16 v187, 0x3722, v171, v176
	v_add_f16_e64 v80, v186, v80
	v_mul_f16_e64 v186, 0xbacd, v185
	v_fma_f16 v176, v171, 0x3722, -v176
	v_add_f16_e64 v182, v182, v172
	v_fma_f16 v172, 0xbacd, v171, v183
	v_add_f16_e64 v180, v187, v180
	v_fma_f16 v187, 0x3836, v170, v186
	v_add_f16_e64 v84, v176, v84
	v_fma_f16 v176, v171, 0xbacd, -v183
	v_add_f16_e64 v88, v172, v88
	v_mul_f16_e64 v184, 0x3a62, v184
	v_mul_f16_e64 v185, 0xb8d2, v185
	v_pk_add_f16 v172, v58, v59 neg_lo:[0,1] neg_hi:[0,1]
	v_add_f16_e64 v183, v187, v173
	v_add_f16_e64 v72, v176, v72
	v_fmac_f16_e64 v186, 0xb836, v170
	v_fma_f16 v176, 0xb8d2, v171, v184
	v_fma_f16 v187, 0xba62, v170, v185
	v_pk_add_f16 v173, v59, v58
	v_pk_mul_f16 v59, 0xbbb2, v172 op_sel_hi:[0,1]
	v_fmac_f16_e64 v188, 0xbb29, v170
	v_add_f16_e64 v90, v186, v90
	v_lshrrev_b32_e32 v186, 16, v172
	v_add_f16_e64 v174, v176, v174
	v_add_f16_e64 v176, v187, v177
	v_pk_fma_f16 v58, 0xb461, v173, v59 op_sel:[0,0,1] op_sel_hi:[0,1,0]
	v_pk_fma_f16 v59, 0xb461, v173, v59 op_sel:[0,0,1] op_sel_hi:[0,1,0] neg_lo:[0,0,1] neg_hi:[0,0,1]
	v_lshrrev_b32_e32 v187, 16, v173
	v_add_f16_e64 v86, v188, v86
	v_mul_f16_e64 v177, 0x3836, v186
	v_fma_f16 v184, v171, 0xb8d2, -v184
	v_fmac_f16_e64 v185, 0x3a62, v170
	v_bfi_b32 v188, 0xffff, v58, v59
	v_mul_f16_e64 v190, 0xbacd, v187
	v_fma_f16 v189, 0xbacd, v173, v177
	v_add_f16_e64 v68, v184, v68
	v_add_f16_e64 v67, v185, v67
	v_pk_add_f16 v69, v188, v69
	v_fma_f16 v184, 0xb836, v172, v190
	v_mul_f16_e64 v185, 0x3964, v186
	v_fma_f16 v177, v173, 0xbacd, -v177
	v_mul_f16_e64 v188, 0x39e9, v187
	v_add_f16_e64 v92, v189, v92
	v_add_f16_e64 v94, v184, v94
	v_fma_f16 v184, 0x39e9, v173, v185
	v_add_f16_e64 v66, v177, v66
	v_fma_f16 v177, 0xb964, v172, v188
	v_mul_f16_e64 v189, 0xbb29, v186
	v_fmac_f16_e64 v190, 0x3836, v172
	v_add_f16_e64 v175, v184, v175
	v_fma_f16 v184, v173, 0x39e9, -v185
	v_fmac_f16_e64 v188, 0x3964, v172
	v_add_f16_e64 v177, v177, v178
	v_fma_f16 v178, 0x3722, v173, v189
	v_mul_f16_e64 v185, 0x3722, v187
	v_add_f16_e64 v73, v190, v73
	v_add_f16_e64 v75, v184, v75
	;; [unrolled: 1-line block ×3, first 2 shown]
	v_mul_f16_e64 v184, 0xb1e1, v186
	v_add_f16_e64 v178, v178, v179
	v_fma_f16 v179, 0x3b29, v172, v185
	v_fma_f16 v188, v173, 0x3722, -v189
	v_fmac_f16_e64 v185, 0xbb29, v172
	v_mul_f16_e64 v190, 0xbbdd, v187
	v_fma_f16 v189, 0xbbdd, v173, v184
	v_add_f16_e64 v179, v179, v181
	v_add_f16_e64 v80, v188, v80
	;; [unrolled: 1-line block ×3, first 2 shown]
	v_fma_f16 v181, 0x31e1, v172, v190
	v_mul_f16_e64 v185, 0x3bf7, v186
	v_mul_f16_e64 v188, 0x2de8, v187
	v_fma_f16 v184, v173, 0xbbdd, -v184
	v_add_f16_e64 v180, v189, v180
	v_add_f16_e64 v181, v181, v182
	v_fma_f16 v182, 0x2de8, v173, v185
	v_fma_f16 v189, 0xbbf7, v172, v188
	v_add_f16_e64 v84, v184, v84
	v_fma_f16 v184, v173, 0x2de8, -v185
	v_mul_f16_e64 v185, 0x3b76, v187
	v_add_f16_e64 v88, v182, v88
	v_add_f16_e64 v182, v189, v183
	v_mul_f16_e64 v183, 0xb5c8, v186
	v_add_f16_e64 v72, v184, v72
	v_pk_add_f16 v184, v53, v56 neg_lo:[0,1] neg_hi:[0,1]
	v_fmac_f16_e64 v188, 0x3bf7, v172
	v_pk_add_f16 v53, v56, v53
	v_fma_f16 v186, 0x3b76, v173, v183
	v_fmac_f16_e64 v190, 0xb1e1, v172
	v_pk_mul_f16 v56, 0xba62, v184 op_sel_hi:[0,1]
	v_fma_f16 v187, 0x35c8, v172, v185
	v_add_f16_e64 v90, v188, v90
	v_lshrrev_b32_e32 v188, 16, v184
	v_add_f16_e64 v174, v186, v174
	v_pk_fma_f16 v186, 0xb8d2, v53, v56 op_sel:[0,0,1] op_sel_hi:[0,1,0]
	v_pk_fma_f16 v56, 0xb8d2, v53, v56 op_sel:[0,0,1] op_sel_hi:[0,1,0] neg_lo:[0,0,1] neg_hi:[0,0,1]
	v_lshrrev_b32_e32 v189, 16, v53
	v_add_f16_e64 v86, v190, v86
	v_add_f16_e64 v176, v187, v176
	v_mul_f16_e64 v187, 0x3bb2, v188
	v_fma_f16 v183, v173, 0x3b76, -v183
	v_fmac_f16_e64 v185, 0xb5c8, v172
	v_bfi_b32 v190, 0xffff, v186, v56
	v_mul_f16_e64 v192, 0xb461, v189
	v_fma_f16 v191, 0xb461, v53, v187
	v_add_f16_e64 v68, v183, v68
	v_add_f16_e64 v67, v185, v67
	v_pk_add_f16 v69, v190, v69
	v_fma_f16 v183, 0xbbb2, v184, v192
	v_mul_f16_e64 v185, 0xb5c8, v188
	v_fma_f16 v187, v53, 0xb461, -v187
	v_mul_f16_e64 v190, 0x3b76, v189
	v_add_f16_e64 v92, v191, v92
	v_add_f16_e64 v94, v183, v94
	v_fma_f16 v183, 0x3b76, v53, v185
	v_add_f16_e64 v66, v187, v66
	v_fma_f16 v187, 0x35c8, v184, v190
	v_mul_f16_e64 v191, 0xb836, v188
	v_fmac_f16_e64 v192, 0x3bb2, v184
	v_add_f16_e64 v175, v183, v175
	v_fma_f16 v183, v53, 0x3b76, -v185
	v_add_f16_e64 v177, v187, v177
	v_fma_f16 v185, 0xbacd, v53, v191
	v_mul_f16_e64 v187, 0xbacd, v189
	v_add_f16_e64 v73, v192, v73
	v_fmac_f16_e64 v190, 0xb5c8, v184
	v_add_f16_e64 v75, v183, v75
	v_mul_f16_e64 v183, 0x3bf7, v188
	v_add_f16_e64 v178, v185, v178
	v_fma_f16 v185, 0x3836, v184, v187
	v_fmac_f16_e64 v187, 0xb836, v184
	v_mul_f16_e64 v192, 0x2de8, v189
	v_add_f16_e64 v77, v190, v77
	v_fma_f16 v190, v53, 0xbacd, -v191
	v_fma_f16 v191, 0x2de8, v53, v183
	v_add_f16_e64 v179, v185, v179
	v_add_f16_e64 v82, v187, v82
	v_fma_f16 v185, 0xbbf7, v184, v192
	v_mul_f16_e64 v187, 0xb964, v188
	v_fma_f16 v183, v53, 0x2de8, -v183
	v_add_f16_e64 v80, v190, v80
	v_mul_f16_e64 v190, 0x39e9, v189
	v_add_f16_e64 v181, v185, v181
	v_fma_f16 v185, 0x39e9, v53, v187
	v_add_f16_e64 v84, v183, v84
	v_fma_f16 v183, v53, 0x39e9, -v187
	v_add_f16_e64 v180, v191, v180
	v_fma_f16 v191, 0x3964, v184, v190
	v_add_f16_e64 v88, v185, v88
	v_mul_f16_e64 v185, 0xb1e1, v188
	v_add_f16_e64 v72, v183, v72
	v_pk_add_f16 v183, v54, v55 neg_lo:[0,1] neg_hi:[0,1]
	v_mul_f16_e64 v187, 0xbbdd, v189
	v_fmac_f16_e64 v190, 0xb964, v184
	v_fma_f16 v188, 0xbbdd, v53, v185
	v_pk_add_f16 v54, v55, v54
	v_pk_mul_f16 v55, 0xb836, v183 op_sel_hi:[0,1]
	v_fmac_f16_e64 v192, 0x3bf7, v184
	v_add_f16_e64 v182, v191, v182
	v_fma_f16 v189, 0x31e1, v184, v187
	v_add_f16_e64 v90, v190, v90
	v_lshrrev_b32_e32 v190, 16, v183
	v_add_f16_e64 v174, v188, v174
	v_pk_fma_f16 v188, 0xbacd, v54, v55 op_sel:[0,0,1] op_sel_hi:[0,1,0]
	v_pk_fma_f16 v55, 0xbacd, v54, v55 op_sel:[0,0,1] op_sel_hi:[0,1,0] neg_lo:[0,0,1] neg_hi:[0,0,1]
	v_lshrrev_b32_e32 v191, 16, v54
	v_add_f16_e64 v86, v192, v86
	v_add_f16_e64 v176, v189, v176
	v_mul_f16_e64 v189, 0x3b29, v190
	v_fma_f16 v185, v53, 0xbbdd, -v185
	v_fmac_f16_e64 v187, 0xb1e1, v184
	v_bfi_b32 v192, 0xffff, v188, v55
	v_mul_f16_e64 v194, 0x3722, v191
	v_fma_f16 v193, 0x3722, v54, v189
	v_add_f16_e64 v68, v185, v68
	v_add_f16_e64 v67, v187, v67
	v_pk_add_f16 v69, v192, v69
	v_fma_f16 v185, 0xbb29, v183, v194
	v_mul_f16_e64 v187, 0xbbf7, v190
	v_fma_f16 v189, v54, 0x3722, -v189
	v_mul_f16_e64 v192, 0x2de8, v191
	v_add_f16_e64 v92, v193, v92
	v_add_f16_e64 v94, v185, v94
	v_fma_f16 v185, 0x2de8, v54, v187
	v_add_f16_e64 v66, v189, v66
	v_fma_f16 v189, 0x3bf7, v183, v192
	v_mul_f16_e64 v193, 0x3a62, v190
	v_fmac_f16_e64 v194, 0x3b29, v183
	v_add_f16_e64 v175, v185, v175
	v_fma_f16 v185, v54, 0x2de8, -v187
	v_add_f16_e64 v177, v189, v177
	v_fma_f16 v187, 0xb8d2, v54, v193
	v_mul_f16_e64 v189, 0xb8d2, v191
	v_add_f16_e64 v73, v194, v73
	v_mul_f16_e64 v194, 0x3b76, v191
	v_fmac_f16_e64 v192, 0xbbf7, v183
	v_add_f16_e64 v178, v187, v178
	v_fma_f16 v187, 0xba62, v183, v189
	v_fmac_f16_e64 v189, 0x3a62, v183
	v_add_f16_e64 v75, v185, v75
	v_mul_f16_e64 v185, 0xb5c8, v190
	v_add_f16_e64 v77, v192, v77
	v_add_f16_e64 v179, v187, v179
	v_add_f16_e64 v82, v189, v82
	v_fma_f16 v187, 0x35c8, v183, v194
	v_mul_f16_e64 v189, 0xb1e1, v190
	v_fma_f16 v192, v54, 0xb8d2, -v193
	v_fma_f16 v193, 0x3b76, v54, v185
	v_fma_f16 v185, v54, 0x3b76, -v185
	v_add_f16_e64 v181, v187, v181
	v_fma_f16 v187, 0xbbdd, v54, v189
	v_add_f16_e64 v80, v192, v80
	v_mul_f16_e64 v192, 0xbbdd, v191
	v_add_f16_e64 v84, v185, v84
	v_fma_f16 v185, v54, 0xbbdd, -v189
	v_add_f16_e64 v88, v187, v88
	v_mul_f16_e64 v187, 0x3964, v190
	v_add_f16_e64 v180, v193, v180
	v_fma_f16 v193, 0x31e1, v183, v192
	v_add_f16_e64 v72, v185, v72
	v_pk_add_f16 v185, v51, v52 neg_lo:[0,1] neg_hi:[0,1]
	v_fma_f16 v190, 0x39e9, v54, v187
	v_fmac_f16_e64 v192, 0xb1e1, v183
	v_pk_add_f16 v51, v52, v51
	v_add_f16_e64 v182, v193, v182
	v_mul_f16_e64 v189, 0x39e9, v191
	v_add_f16_e64 v174, v190, v174
	v_lshrrev_b32_e32 v190, 16, v185
	v_add_f16_e64 v90, v192, v90
	v_fma_f16 v187, v54, 0x39e9, -v187
	v_lshrrev_b32_e32 v193, 16, v51
	v_fma_f16 v191, 0xb964, v183, v189
	v_mul_f16_e64 v192, 0x35c8, v190
	v_pk_mul_f16 v52, 0xb1e1, v185 op_sel_hi:[0,1]
	v_add_f16_e64 v68, v187, v68
	v_mul_f16_e64 v195, 0x3b76, v193
	v_fmac_f16_e64 v194, 0xb5c8, v183
	v_fma_f16 v187, 0x3b76, v51, v192
	v_add_f16_e64 v176, v191, v176
	v_pk_fma_f16 v191, 0xbbdd, v51, v52 op_sel:[0,0,1] op_sel_hi:[0,1,0]
	v_pk_fma_f16 v52, 0xbbdd, v51, v52 op_sel:[0,0,1] op_sel_hi:[0,1,0] neg_lo:[0,0,1] neg_hi:[0,0,1]
	v_fmac_f16_e64 v189, 0x3964, v183
	v_add_f16_e64 v92, v187, v92
	v_fma_f16 v187, 0xb5c8, v185, v195
	v_fma_f16 v192, v51, 0x3b76, -v192
	v_mul_f16_e64 v196, 0xbacd, v193
	v_add_f16_e64 v86, v194, v86
	v_bfi_b32 v194, 0xffff, v191, v52
	v_add_f16_e64 v67, v189, v67
	v_mul_f16_e64 v189, 0xb836, v190
	v_add_f16_e64 v94, v187, v94
	v_add_f16_e64 v66, v192, v66
	v_fma_f16 v187, 0x3836, v185, v196
	v_mul_f16_e64 v192, 0x3964, v190
	v_pk_add_f16 v69, v194, v69
	v_fma_f16 v194, 0xbacd, v51, v189
	v_fmac_f16_e64 v195, 0x35c8, v185
	v_add_f16_e64 v177, v187, v177
	v_fma_f16 v187, 0x39e9, v51, v192
	v_fma_f16 v189, v51, 0xbacd, -v189
	v_add_f16_e64 v175, v194, v175
	v_mul_f16_e64 v194, 0x39e9, v193
	v_add_f16_e64 v73, v195, v73
	v_add_f16_e64 v178, v187, v178
	v_fma_f16 v187, v51, 0x39e9, -v192
	v_add_f16_e64 v75, v189, v75
	v_fma_f16 v189, 0xb964, v185, v194
	v_mul_f16_e64 v195, 0xba62, v190
	v_fmac_f16_e64 v194, 0x3964, v185
	v_add_f16_e64 v80, v187, v80
	v_mul_f16_e64 v187, 0x3b29, v190
	v_add_f16_e64 v179, v189, v179
	v_fma_f16 v189, 0xb8d2, v51, v195
	v_add_f16_e64 v82, v194, v82
	v_fma_f16 v194, v51, 0xb8d2, -v195
	v_fma_f16 v195, 0x3722, v51, v187
	v_fma_f16 v187, v51, 0x3722, -v187
	v_mul_f16_e64 v190, 0xbbb2, v190
	v_mul_f16_e64 v192, 0xb8d2, v193
	v_pk_mul_f16 v165, 0xbbdd, v165 op_sel_hi:[0,1]
	v_add_f16_e64 v180, v189, v180
	v_add_f16_e64 v72, v187, v72
	v_fma_f16 v187, 0xb461, v51, v190
	v_fma_f16 v189, 0x3a62, v185, v192
	v_pk_mul_f16 v167, 0x3b76, v167 op_sel_hi:[0,1]
	v_pack_b32_f16 v175, v175, v177
	v_pk_mul_f16 v169, 0xbacd, v169 op_sel_hi:[0,1]
	v_add_f16_e64 v174, v187, v174
	v_pk_fma_f16 v187, 0xb1e1, v164, v165 op_sel:[0,0,1] op_sel_hi:[0,1,0]
	v_add_f16_e64 v181, v189, v181
	v_pk_fma_f16 v164, 0xb1e1, v164, v165 op_sel:[0,0,1] op_sel_hi:[0,1,0] neg_lo:[0,1,0] neg_hi:[0,1,0]
	v_pk_fma_f16 v165, 0x35c8, v166, v167 op_sel:[0,0,1] op_sel_hi:[0,1,0]
	v_pack_b32_f16 v92, v92, v94
	v_alignbit_b32 v177, s0, v187, 16
	v_pack_b32_f16 v94, v180, v181
	v_alignbit_b32 v180, s0, v49, 16
	v_pk_add_f16 v164, v49, v164 op_sel:[1,0] op_sel_hi:[0,1]
	v_alignbit_b32 v181, s0, v165, 16
	v_pk_add_f16 v177, v49, v177
	v_pk_fma_f16 v166, 0x35c8, v166, v167 op_sel:[0,0,1] op_sel_hi:[0,1,0] neg_lo:[0,1,0] neg_hi:[0,1,0]
	v_pk_fma_f16 v167, 0xb836, v168, v169 op_sel:[0,0,1] op_sel_hi:[0,1,0]
	v_pk_mul_f16 v171, 0x39e9, v171 op_sel_hi:[0,1]
	v_pk_add_f16 v180, v180, v187
	v_pk_add_f16 v177, v181, v177
	;; [unrolled: 1-line block ×3, first 2 shown]
	v_alignbit_b32 v166, s0, v167, 16
	v_pk_fma_f16 v168, 0xb836, v168, v169 op_sel:[0,0,1] op_sel_hi:[0,1,0] neg_lo:[0,1,0] neg_hi:[0,1,0]
	v_pk_fma_f16 v169, 0x3964, v170, v171 op_sel:[0,0,1] op_sel_hi:[0,1,0]
	v_pk_mul_f16 v173, 0xb8d2, v173 op_sel_hi:[0,1]
	v_bfi_b32 v50, 0xffff, v162, v50
	v_pk_add_f16 v165, v165, v180
	v_pk_add_f16 v166, v166, v177
	;; [unrolled: 1-line block ×3, first 2 shown]
	v_alignbit_b32 v168, s0, v169, 16
	v_pk_fma_f16 v170, 0x3964, v170, v171 op_sel:[0,0,1] op_sel_hi:[0,1,0] neg_lo:[0,1,0] neg_hi:[0,1,0]
	v_pk_fma_f16 v171, 0xba62, v172, v173 op_sel:[0,0,1] op_sel_hi:[0,1,0]
	v_pk_add_f16 v49, v49, v50
	v_bfi_b32 v50, 0xffff, v64, v61
	v_pk_add_f16 v165, v167, v165
	v_pk_add_f16 v166, v168, v166
	v_alignbit_b32 v167, s0, v171, 16
	v_pk_mul_f16 v53, 0x3722, v53 op_sel_hi:[0,1]
	v_pk_add_f16 v49, v50, v49
	v_bfi_b32 v50, 0xffff, v63, v62
	v_pk_add_f16 v164, v170, v164
	v_pk_fma_f16 v168, 0xba62, v172, v173 op_sel:[0,0,1] op_sel_hi:[0,1,0] neg_lo:[0,1,0] neg_hi:[0,1,0]
	v_pk_add_f16 v165, v169, v165
	v_pk_add_f16 v166, v167, v166
	v_pk_fma_f16 v167, 0x3b29, v184, v53 op_sel:[0,0,1] op_sel_hi:[0,1,0]
	v_pk_mul_f16 v54, 0xb461, v54 op_sel_hi:[0,1]
	v_fmac_f16_e64 v196, 0xb836, v185
	v_pk_add_f16 v49, v50, v49
	v_bfi_b32 v50, 0xffff, v60, v57
	v_fma_f16 v190, v51, 0xb461, -v190
	v_pk_add_f16 v164, v168, v164
	v_pk_add_f16 v162, v171, v165
	v_alignbit_b32 v165, s0, v167, 16
	v_pk_fma_f16 v53, 0x3b29, v184, v53 op_sel:[0,0,1] op_sel_hi:[0,1,0] neg_lo:[0,1,0] neg_hi:[0,1,0]
	v_pk_fma_f16 v168, 0xbbb2, v183, v54 op_sel:[0,0,1] op_sel_hi:[0,1,0]
	v_pk_mul_f16 v51, 0x2de8, v51 op_sel_hi:[0,1]
	v_add_f16_e64 v77, v196, v77
	v_fmac_f16_e64 v192, 0xba62, v185
	v_mul_f16_e64 v196, 0x3722, v193
	v_pk_add_f16 v49, v50, v49
	v_bfi_b32 v50, 0xffff, v59, v58
	v_pk_add_f16 v61, v165, v166
	v_pk_add_f16 v53, v53, v164
	v_alignbit_b32 v64, s0, v168, 16
	v_pk_add_f16 v62, v167, v162
	v_pk_fma_f16 v54, 0xbbb2, v183, v54 op_sel:[0,0,1] op_sel_hi:[0,1,0] neg_lo:[0,1,0] neg_hi:[0,1,0]
	v_pk_fma_f16 v63, 0x3bf7, v185, v51 op_sel:[0,0,1] op_sel_hi:[0,1,0]
	v_add_f16_e64 v86, v192, v86
	v_fma_f16 v189, 0xbb29, v185, v196
	v_mul_f16_e64 v192, 0xb461, v193
	v_pk_add_f16 v49, v50, v49
	v_bfi_b32 v50, 0xffff, v56, v186
	v_pk_add_f16 v61, v64, v61
	v_pk_add_f16 v53, v54, v53
	;; [unrolled: 1-line block ×3, first 2 shown]
	v_alignbit_b32 v57, s0, v63, 16
	v_pk_fma_f16 v51, 0x3bf7, v185, v51 op_sel:[0,0,1] op_sel_hi:[0,1,0] neg_lo:[0,1,0] neg_hi:[0,1,0]
	v_fmac_f16_e64 v196, 0x3b29, v185
	v_add_f16_e64 v182, v189, v182
	v_fma_f16 v189, 0x3bb2, v185, v192
	v_fmac_f16_e64 v192, 0xbbb2, v185
	v_pk_add_f16 v49, v50, v49
	v_bfi_b32 v50, 0xffff, v55, v188
	v_pk_add_f16 v57, v57, v61
	v_pk_add_f16 v51, v51, v53
	v_pk_add_f16 v53, v63, v54
	v_add_f16_e64 v88, v195, v88
	v_add_f16_e64 v90, v196, v90
	;; [unrolled: 1-line block ×6, first 2 shown]
	v_pk_add_f16 v49, v50, v49
	v_bfi_b32 v50, 0xffff, v52, v191
	v_pack_b32_f16 v177, v178, v179
	v_alignbit_b32 v53, v53, v51, 16
	v_pack_b32_f16 v51, v57, v51
	v_pack_b32_f16 v170, v174, v176
	;; [unrolled: 1-line block ×7, first 2 shown]
	s_barrier_signal -1
	s_barrier_wait -1
	global_inv scope:SCOPE_SE
	ds_store_2addr_b32 v107, v163, v69 offset1:1
	ds_store_2addr_b32 v107, v92, v175 offset0:2 offset1:3
	ds_store_2addr_b32 v107, v177, v94 offset0:4 offset1:5
	;; [unrolled: 1-line block ×3, first 2 shown]
	v_pack_b32_f16 v57, v66, v73
	v_pack_b32_f16 v58, v75, v77
	v_pk_add_f16 v49, v50, v49
	ds_store_2addr_b32 v107, v51, v53 offset0:8 offset1:9
	ds_store_2addr_b32 v107, v55, v54 offset0:10 offset1:11
	;; [unrolled: 1-line block ×4, first 2 shown]
	ds_store_b32 v107, v49 offset:64
	s_and_saveexec_b32 s0, vcc_lo
	s_cbranch_execz .LBB0_13
; %bb.12:
	v_add_f16_e64 v49, v47, v157
	v_sub_f16_e32 v51, v19, v22
	v_lshrrev_b32_e32 v66, 16, v155
	v_sub_f16_e32 v50, v20, v21
	v_add_f16_e64 v67, v74, v161
	v_add_f16_e32 v49, v48, v49
	v_sub_f16_e32 v53, v45, v18
	v_add_f16_e64 v64, v66, v159
	v_sub_f16_e32 v55, v48, v15
	v_mul_f16_e32 v69, 0x3b76, v67
	v_add_f16_e32 v49, v45, v49
	v_sub_f16_e64 v72, v159, v66
	v_mul_f16_e32 v68, 0xbbdd, v64
	v_sub_f16_e64 v75, v161, v74
	v_add_f16_e64 v80, v76, v160
	v_add_f16_e32 v49, v46, v49
	v_mul_f16_e32 v73, 0xb1e1, v72
	v_sub_f16_e64 v84, v160, v76
	v_mul_f16_e32 v77, 0x35c8, v75
	v_mul_f16_e32 v82, 0xbacd, v80
	v_add_f16_e32 v49, v19, v49
	v_add_f16_e32 v88, v78, v113
	v_mul_f16_e32 v86, 0xb836, v84
	v_add_f16_e64 v92, v79, v216
	v_add_f16_e64 v183, v114, v120
	v_add_f16_e32 v49, v20, v49
	v_mul_f16_e32 v90, 0x39e9, v88
	v_dual_mov_b32 v121, v120 :: v_dual_mov_b32 v120, v216
	v_mul_f16_e32 v94, 0xb8d2, v92
	s_delay_alu instid0(VALU_DEP_4)
	v_add_f16_e32 v49, v41, v49
	v_mul_f16_e64 v216, 0x3722, v183
	v_add_f16_e64 v185, v129, v122
	v_sub_f16_e64 v218, v113, v78
	v_sub_f16_e64 v220, v120, v79
	v_add_f16_e64 v49, v155, v49
	v_mul_f16_e64 v222, 0xbacd, v64
	v_mul_f16_e64 v217, 0xb461, v185
	;; [unrolled: 1-line block ×4, first 2 shown]
	v_add_f16_e32 v49, v43, v49
	v_mul_f16_e64 v223, 0x3722, v67
	v_sub_f16_e64 v224, v121, v114
	v_mul_f16_e64 v226, 0x2de8, v80
	v_add_f16_e64 v227, v128, v118
	v_add_f16_e32 v52, v44, v49
	v_add_f16_e32 v49, v22, v19
	;; [unrolled: 1-line block ×4, first 2 shown]
	v_mul_f16_e64 v225, 0x3b29, v224
	v_add_f16_e32 v54, v21, v52
	v_sub_f16_e32 v52, v46, v17
	v_add_f16_e32 v46, v16, v47
	v_add_f16_e32 v21, v18, v45
	v_add_f16_e32 v45, v15, v48
	v_add_f16_e32 v22, v22, v54
	v_sub_f16_e32 v54, v47, v16
	v_mul_f16_e64 v228, 0x2de8, v227
	v_sub_f16_e64 v229, v122, v129
	v_mul_f16_e64 v231, 0xb8d2, v88
	v_add_f16_e32 v47, v17, v22
	v_sub_f16_e32 v22, v41, v44
	v_add_f16_e32 v17, v44, v41
	v_sub_f16_e64 v41, v155, v43
	v_mul_f16_e64 v230, 0xbbb2, v229
	v_add_f16_e32 v44, v18, v47
	v_add_f16_e64 v18, v43, v155
	v_fmamk_f16 v43, v54, 0x31e1, v68
	v_fma_f16 v47, 0xbb29, v55, v223
	v_mul_f16_e64 v232, 0x3b76, v92
	v_add_f16_e32 v15, v15, v44
	v_fmamk_f16 v44, v45, 0x3b76, v77
	v_add_f16_e64 v43, v158, v43
	v_mul_f16_e64 v233, 0xbbdd, v183
	v_sub_f16_e64 v234, v118, v128
	v_add_f16_e32 v15, v16, v15
	v_fmamk_f16 v16, v55, 0xb5c8, v69
	v_mul_f16_e64 v236, 0x39e9, v185
	v_mul_f16_e64 v237, 0xb836, v72
	;; [unrolled: 1-line block ×3, first 2 shown]
	s_clause 0x1
	scratch_store_b32 off, v15, off offset:60
	scratch_store_b32 off, v70, off offset:84
	v_add_f16_e32 v16, v16, v43
	v_fmamk_f16 v43, v46, 0xbbdd, v73
	v_mul_f16_e64 v238, 0x3b29, v75
	v_mul_f16_e64 v239, 0xbbf7, v84
	v_mul_f16_e64 v240, 0x3a62, v218
	v_mul_f16_e64 v241, 0xb8d2, v64
	v_add_f16_e64 v43, v157, v43
	v_fma_f16 v48, 0x3722, v45, v238
	v_mul_f16_e64 v242, 0xb461, v67
	v_mul_f16_e64 v243, 0xb5c8, v220
	;; [unrolled: 1-line block ×3, first 2 shown]
	v_add_f16_e32 v43, v44, v43
	v_fmamk_f16 v44, v53, 0x3836, v82
	v_fma_f16 v56, 0xbbb2, v55, v242
	v_mul_f16_e64 v245, 0xb1e1, v224
	v_mul_f16_e64 v246, 0xb461, v227
	;; [unrolled: 1-line block ×3, first 2 shown]
	v_add_f16_e32 v16, v44, v16
	v_fmamk_f16 v44, v21, 0xbacd, v86
	v_mul_f16_e64 v248, 0x3964, v229
	v_mul_f16_e64 v249, 0x2de8, v92
	;; [unrolled: 1-line block ×4, first 2 shown]
	v_add_f16_e32 v43, v44, v43
	v_fmamk_f16 v44, v52, 0xb964, v90
	v_mul_f16_e64 v252, 0xbbdd, v185
	v_mul_f16_e64 v253, 0xba62, v72
	;; [unrolled: 1-line block ×4, first 2 shown]
	v_add_f16_e32 v16, v44, v16
	v_fmamk_f16 v44, v51, 0x3a62, v94
	v_mov_b32_e32 v156, v106
	v_fma_f16 v57, 0xb461, v45, v254
	v_mul_f16_e64 v106, 0xb836, v218
	v_dual_mov_b32 v134, v104 :: v_dual_mov_b32 v135, v149
	v_add_f16_e32 v16, v44, v16
	v_fma_f16 v44, 0xbb29, v50, v216
	v_mul_f16_e64 v104, 0xb964, v224
	v_mul_f16_e64 v70, 0x3722, v227
	v_dual_mov_b32 v149, v116 :: v_dual_mov_b32 v138, v110
	s_delay_alu instid0(VALU_DEP_4)
	v_add_f16_e32 v16, v44, v16
	v_fma_f16 v44, 0x3bb2, v22, v217
	v_mul_f16_e64 v116, 0xb1e1, v229
	v_mul_f16_e32 v108, 0xbbdd, v92
	v_mul_f16_e64 v109, 0x2de8, v183
	v_mul_f16_e64 v110, 0x3b29, v234
	v_add_f16_e32 v16, v44, v16
	v_fma_f16 v44, 0x39e9, v20, v219
	v_mul_f16_e64 v215, 0x3b76, v185
	v_dual_mov_b32 v139, v111 :: v_dual_mov_b32 v140, v112
	v_mul_f16_e32 v111, 0xbbb2, v72
	s_delay_alu instid0(VALU_DEP_4)
	v_add_f16_e32 v43, v44, v43
	v_fma_f16 v44, 0xb8d2, v49, v221
	v_mul_f16_e32 v112, 0x3836, v75
	v_mov_b32_e32 v124, v96
	v_mov_b32_e32 v96, v79
	v_mul_f16_e32 v79, 0x2de8, v64
	v_add_f16_e32 v43, v44, v43
	v_fma_f16 v44, 0x3836, v54, v222
	v_fmamk_f16 v59, v45, 0xbacd, v112
	v_dual_mov_b32 v136, v81 :: v_dual_mov_b32 v141, v123
	v_mul_f16_e32 v81, 0xbbdd, v67
	s_delay_alu instid0(VALU_DEP_4)
	v_add_f16_e64 v44, v158, v44
	v_mul_f16_e64 v210, 0xb461, v80
	v_mul_f16_e64 v213, 0xb8d2, v227
	v_mul_f16_e64 v211, 0x3b76, v88
	v_fmamk_f16 v60, v55, 0x31e1, v81
	v_add_f16_e32 v44, v47, v44
	v_fma_f16 v47, 0x3722, v19, v225
	v_mul_f16_e64 v214, 0xb5c8, v229
	v_mul_f16_e64 v202, 0x3722, v92
	;; [unrolled: 1-line block ×4, first 2 shown]
	v_add_f16_e32 v43, v47, v43
	v_fma_f16 v47, 0x3bf7, v53, v226
	v_mul_f16_e64 v197, 0xb8d2, v185
	v_mul_f16_e32 v123, 0xb1e1, v75
	v_mul_f16_e64 v212, 0x3bb2, v84
	v_mul_f16_e64 v209, 0x35c8, v218
	v_add_f16_e32 v44, v47, v44
	v_fma_f16 v47, 0xbbf7, v41, v228
	v_fmamk_f16 v61, v45, 0xbbdd, v123
	v_mul_f16_e64 v207, 0x3722, v64
	v_mul_f16_e64 v208, 0xb8d2, v67
	;; [unrolled: 1-line block ×3, first 2 shown]
	v_add_f16_e32 v15, v47, v16
	v_fma_f16 v47, 0xb461, v17, v230
	v_mov_b32_e32 v16, v144
	v_mov_b32_e32 v144, v130
	;; [unrolled: 1-line block ×3, first 2 shown]
	scratch_store_b32 off, v15, off offset:64 ; 4-byte Folded Spill
	v_add_f16_e32 v43, v47, v43
	v_fma_f16 v47, 0xba62, v52, v231
	v_mul_f16_e32 v97, 0xb461, v64
	v_fma_f16 v62, 0x3a62, v55, v208
	v_mul_f16_e64 v205, 0xbbdd, v80
	v_mul_f16_e64 v203, 0xb836, v224
	v_add_f16_e32 v44, v47, v44
	v_fma_f16 v47, 0x35c8, v51, v232
	v_mul_f16_e64 v204, 0x39e9, v227
	v_mul_f16_e64 v200, 0xb461, v88
	v_mul_f16_e64 v178, 0x3a62, v229
	v_mul_f16_e64 v187, 0x39e9, v92
	v_add_f16_e32 v44, v47, v44
	v_fma_f16 v47, 0x31e1, v50, v233
	v_mul_f16_e64 v177, 0x3b76, v183
	v_mul_f16_e64 v173, 0x3964, v234
	;; [unrolled: 6-line block ×3, first 2 shown]
	v_mul_f16_e64 v186, 0x3bb2, v218
	v_mul_f16_e64 v199, 0x39e9, v64
	v_add_f16_e32 v15, v47, v43
	v_fma_f16 v47, 0xb964, v22, v236
	v_fma_f16 v63, 0xb8d2, v45, v194
	v_mul_f16_e64 v198, 0x2de8, v67
	v_mul_f16_e64 v184, 0x3964, v220
	scratch_store_b32 off, v15, off offset:68 ; 4-byte Folded Spill
	v_add_f16_e32 v44, v47, v44
	v_fma_f16 v47, 0xbacd, v46, v237
	v_fma_f16 v107, 0x3bf7, v55, v198
	v_mul_f16_e64 v195, 0xb8d2, v80
	v_mul_f16_e64 v181, 0xb5c8, v224
	;; [unrolled: 1-line block ×3, first 2 shown]
	v_add_f16_e64 v47, v157, v47
	v_mul_f16_e64 v196, 0xbbdd, v88
	v_mul_f16_e64 v182, 0xbbf7, v229
	;; [unrolled: 1-line block ×4, first 2 shown]
	v_add_f16_e32 v47, v48, v47
	v_fma_f16 v48, 0x2de8, v21, v239
	v_mul_f16_e64 v176, 0x3722, v185
	v_mul_f16_e64 v174, 0xb964, v72
	;; [unrolled: 1-line block ×4, first 2 shown]
	v_add_f16_e32 v47, v48, v47
	v_fma_f16 v48, 0xb8d2, v20, v240
	v_mul_f16_e64 v179, 0x3b76, v64
	v_fma_f16 v162, 0x2de8, v45, v168
	v_mul_f16_e64 v163, 0xb1e1, v218
	v_mul_f16_e64 v170, 0x39e9, v67
	v_add_f16_e32 v47, v48, v47
	v_fma_f16 v48, 0x3a62, v54, v241
	v_fma_f16 v64, 0x35c8, v54, v179
	v_mul_f16_e64 v166, 0x3836, v220
	v_mul_f16_e64 v172, 0x3722, v80
	v_mul_f16_e64 v165, 0x3bb2, v224
	v_add_f16_e64 v48, v158, v48
	v_add_f16_e64 v64, v158, v64
	v_mul_f16_e64 v171, 0x2de8, v88
	v_mul_f16_e64 v164, 0x3b29, v229
	;; [unrolled: 1-line block ×3, first 2 shown]
	v_add_f16_e32 v48, v56, v48
	v_fma_f16 v56, 0x3b76, v49, v243
	v_mul_f16_e64 v189, 0xb5c8, v72
	v_fmac_f16_e32 v68, 0xb1e1, v54
	v_fmac_f16_e32 v69, 0x35c8, v55
	;; [unrolled: 1-line block ×3, first 2 shown]
	v_add_f16_e32 v47, v56, v47
	v_fma_f16 v56, 0x35c8, v53, v244
	v_add_f16_e64 v68, v158, v68
	v_fmac_f16_e32 v90, 0x3964, v52
	v_fmac_f16_e32 v94, 0xba62, v51
	v_fmac_f16_e64 v216, 0x3b29, v50
	v_add_f16_e32 v48, v56, v48
	v_fma_f16 v56, 0xbbdd, v19, v245
	v_add_f16_e32 v68, v69, v68
	v_fmac_f16_e64 v217, 0xbbb2, v22
	v_fmac_f16_e64 v222, 0xb836, v54
	v_fmac_f16_e64 v223, 0x3b29, v55
	v_add_f16_e32 v47, v56, v47
	v_fma_f16 v56, 0x3bb2, v41, v246
	v_add_f16_e32 v68, v82, v68
	v_fmac_f16_e64 v226, 0xbbf7, v53
	v_fmac_f16_e64 v228, 0x3bf7, v41
	;; [unrolled: 1-line block ×3, first 2 shown]
	v_add_f16_e32 v15, v56, v44
	v_fma_f16 v56, 0x3836, v52, v247
	v_mov_b32_e32 v44, v132
	v_mul_f16_e64 v132, 0x3bf7, v220
	v_add_f16_e32 v68, v90, v68
	scratch_store_b32 off, v15, off offset:72 ; 4-byte Folded Spill
	v_add_f16_e32 v48, v56, v48
	v_fma_f16 v56, 0x39e9, v17, v248
	v_fmac_f16_e64 v241, 0xba62, v54
	v_add_f16_e32 v68, v94, v68
	v_fmac_f16_e64 v242, 0x3bb2, v55
	v_fmac_f16_e64 v244, 0xb5c8, v53
	v_add_f16_e32 v47, v56, v47
	v_fma_f16 v56, 0xbbf7, v51, v249
	v_add_f16_e64 v68, v216, v68
	v_fmac_f16_e64 v247, 0xb836, v52
	v_fmac_f16_e64 v249, 0x3bf7, v51
	v_fmac_f16_e32 v81, 0xb1e1, v55
	v_add_f16_e32 v48, v56, v48
	v_fma_f16 v56, 0x3964, v50, v250
	v_fmac_f16_e64 v250, 0xb964, v50
	v_fmac_f16_e64 v208, 0xba62, v55
	;; [unrolled: 1-line block ×4, first 2 shown]
	v_add_f16_e32 v48, v56, v48
	v_fma_f16 v56, 0xb461, v18, v251
	v_fmac_f16_e64 v179, 0xb5c8, v54
	v_fmac_f16_e64 v246, 0xbbb2, v41
	;; [unrolled: 1-line block ×4, first 2 shown]
	v_add_f16_e32 v15, v56, v47
	v_fma_f16 v56, 0x31e1, v22, v252
	v_mov_b32_e32 v47, v147
	v_mov_b32_e32 v147, v133
	;; [unrolled: 1-line block ×3, first 2 shown]
	scratch_store_b32 off, v15, off offset:76 ; 4-byte Folded Spill
	v_add_f16_e32 v48, v56, v48
	v_fma_f16 v56, 0xb8d2, v46, v253
	v_mov_b32_e32 v15, v131
	v_mov_b32_e32 v131, v99
	v_mul_f16_e32 v99, 0xbacd, v67
	v_mul_f16_e32 v103, 0x39e9, v80
	v_add_f16_e64 v56, v157, v56
	v_fma_f16 v67, 0x3964, v55, v170
	v_fma_f16 v80, 0x3b29, v53, v172
	v_fmamk_f16 v58, v55, 0xb836, v99
	v_fmac_f16_e32 v99, 0x3836, v55
	v_add_f16_e32 v56, v57, v56
	v_fma_f16 v57, 0x3b76, v21, v255
	v_add_f16_e32 v64, v67, v64
	v_fma_f16 v67, 0xbacd, v49, v166
	v_fmac_f16_e64 v252, 0xb1e1, v22
	v_fmac_f16_e64 v170, 0xb964, v55
	v_add_f16_e32 v56, v57, v56
	v_fmamk_f16 v57, v20, 0xbacd, v106
	v_add_f16_e32 v64, v80, v64
	v_fma_f16 v80, 0xb461, v19, v165
	v_fma_f16 v55, v46, 0x39e9, -v174
	v_fmac_f16_e64 v172, 0xbb29, v53
	v_add_f16_e32 v56, v57, v56
	v_fmamk_f16 v57, v54, 0x3bb2, v97
	v_fmac_f16_e32 v97, 0xbbb2, v54
	v_add_f16_e64 v55, v157, v55
	s_delay_alu instid0(VALU_DEP_3) | instskip(NEXT) | instid1(VALU_DEP_1)
	v_add_f16_e64 v57, v158, v57
	v_add_f16_e32 v57, v58, v57
	v_fma_f16 v58, 0x2de8, v49, v132
	s_delay_alu instid0(VALU_DEP_1) | instskip(SKIP_2) | instid1(VALU_DEP_2)
	v_add_f16_e32 v56, v58, v56
	v_fmamk_f16 v58, v53, 0xb964, v103
	v_fmac_f16_e32 v103, 0x3964, v53
	v_add_f16_e32 v57, v58, v57
	v_fmamk_f16 v58, v19, 0x39e9, v104
	s_delay_alu instid0(VALU_DEP_1) | instskip(SKIP_2) | instid1(VALU_DEP_2)
	v_add_f16_e32 v56, v58, v56
	v_fmamk_f16 v58, v41, 0xbb29, v70
	v_fmac_f16_e32 v70, 0x3b29, v41
	v_add_f16_e32 v43, v58, v48
	s_clause 0x1
	scratch_store_b32 off, v43, off offset:80
	scratch_store_b32 off, v71, off offset:88
	v_mul_f16_e32 v71, 0x3722, v88
	v_mov_b32_e32 v48, v119
	v_mul_f16_e64 v119, 0xbb29, v218
	scratch_store_b32 off, v87, off offset:56 ; 4-byte Folded Spill
	v_mul_f16_e64 v87, 0x3bf7, v224
	v_fmamk_f16 v58, v52, 0x3b29, v71
	v_fmac_f16_e32 v71, 0xbb29, v52
	s_delay_alu instid0(VALU_DEP_2) | instskip(SKIP_1) | instid1(VALU_DEP_1)
	v_add_f16_e32 v57, v58, v57
	v_fmamk_f16 v58, v17, 0xbbdd, v116
	v_add_f16_e32 v56, v58, v56
	v_fmamk_f16 v58, v51, 0x31e1, v108
	v_fmac_f16_e32 v108, 0xb1e1, v51
	s_delay_alu instid0(VALU_DEP_2) | instskip(SKIP_2) | instid1(VALU_DEP_2)
	v_add_f16_e32 v57, v58, v57
	v_fmamk_f16 v58, v50, 0xbbf7, v109
	v_fmac_f16_e32 v109, 0x3bf7, v50
	v_add_f16_e32 v57, v58, v57
	v_fmamk_f16 v58, v18, 0x3722, v110
	s_delay_alu instid0(VALU_DEP_1)
	v_add_f16_e32 v43, v58, v56
	v_fma_f16 v58, 0x35c8, v22, v215
	v_mov_b32_e32 v56, v142
	v_dual_mov_b32 v142, v125 :: v_dual_mov_b32 v125, v83
	scratch_store_b32 off, v43, off offset:92 ; 4-byte Folded Spill
	v_add_f16_e32 v57, v58, v57
	v_fmamk_f16 v58, v46, 0xb461, v111
	v_dual_mov_b32 v43, v42 :: v_dual_mov_b32 v42, v126
	v_mov_b32_e32 v126, v117
	v_mul_f16_e32 v117, 0x3964, v84
	s_delay_alu instid0(VALU_DEP_4) | instskip(SKIP_2) | instid1(VALU_DEP_3)
	v_add_f16_e64 v58, v157, v58
	v_mul_f16_e64 v83, 0xb1e1, v220
	v_fmac_f16_e64 v215, 0xb5c8, v22
	v_add_f16_e32 v58, v59, v58
	v_fmamk_f16 v59, v21, 0x39e9, v117
	s_delay_alu instid0(VALU_DEP_1) | instskip(SKIP_1) | instid1(VALU_DEP_1)
	v_add_f16_e32 v58, v59, v58
	v_fmamk_f16 v59, v20, 0x3722, v119
	v_add_f16_e32 v58, v59, v58
	v_fmamk_f16 v59, v54, 0x3bf7, v79
	v_fmac_f16_e32 v79, 0xbbf7, v54
	s_delay_alu instid0(VALU_DEP_2) | instskip(NEXT) | instid1(VALU_DEP_1)
	v_add_f16_e64 v59, v158, v59
	v_add_f16_e32 v59, v60, v59
	v_fmamk_f16 v60, v49, 0xbbdd, v83
	s_delay_alu instid0(VALU_DEP_1) | instskip(SKIP_2) | instid1(VALU_DEP_2)
	v_add_f16_e32 v58, v60, v58
	v_fma_f16 v60, 0xbbb2, v53, v210
	v_fmac_f16_e64 v210, 0x3bb2, v53
	v_add_f16_e32 v59, v60, v59
	v_fmamk_f16 v60, v19, 0x2de8, v87
	s_delay_alu instid0(VALU_DEP_1) | instskip(SKIP_2) | instid1(VALU_DEP_2)
	v_add_f16_e32 v58, v60, v58
	v_fma_f16 v60, 0x3a62, v41, v213
	v_fmac_f16_e64 v213, 0xba62, v41
	v_add_f16_e32 v57, v60, v57
	v_fma_f16 v60, 0xb5c8, v52, v211
	v_fmac_f16_e64 v211, 0x35c8, v52
	scratch_store_b32 off, v57, off offset:96 ; 4-byte Folded Spill
	v_add_f16_e32 v59, v60, v59
	v_fma_f16 v60, 0x3b76, v17, v214
	v_mov_b32_e32 v57, v143
	v_mov_b32_e32 v143, v127
	;; [unrolled: 1-line block ×3, first 2 shown]
	v_mul_f16_e32 v85, 0xbbf7, v72
	v_add_f16_e32 v58, v60, v58
	v_fma_f16 v60, 0x3b29, v51, v202
	v_fma_f16 v72, 0x3b76, v46, v189
	v_fmac_f16_e64 v202, 0xbb29, v51
	s_delay_alu instid0(VALU_DEP_3) | instskip(SKIP_1) | instid1(VALU_DEP_4)
	v_add_f16_e32 v59, v60, v59
	v_fma_f16 v60, 0x3836, v50, v201
	v_add_f16_e64 v72, v157, v72
	v_fmac_f16_e64 v201, 0xb836, v50
	s_delay_alu instid0(VALU_DEP_3) | instskip(SKIP_1) | instid1(VALU_DEP_1)
	v_add_f16_e32 v59, v60, v59
	v_fma_f16 v60, 0xb8d2, v18, v191
	v_add_f16_e32 v58, v60, v58
	v_fma_f16 v60, 0xba62, v22, v197
	v_fmac_f16_e64 v197, 0x3a62, v22
	s_delay_alu instid0(VALU_DEP_2) | instskip(SKIP_1) | instid1(VALU_DEP_1)
	v_add_f16_e32 v59, v60, v59
	v_fmamk_f16 v60, v46, 0x2de8, v85
	v_add_f16_e64 v60, v157, v60
	s_delay_alu instid0(VALU_DEP_1) | instskip(SKIP_1) | instid1(VALU_DEP_1)
	v_add_f16_e32 v60, v61, v60
	v_fma_f16 v61, 0xb461, v21, v212
	v_add_f16_e32 v60, v61, v60
	v_fma_f16 v61, 0x3b76, v20, v209
	s_delay_alu instid0(VALU_DEP_1) | instskip(SKIP_2) | instid1(VALU_DEP_2)
	v_add_f16_e32 v60, v61, v60
	v_fma_f16 v61, 0x3b29, v54, v207
	v_fmac_f16_e64 v207, 0xbb29, v54
	v_add_f16_e64 v61, v158, v61
	s_delay_alu instid0(VALU_DEP_1) | instskip(SKIP_1) | instid1(VALU_DEP_1)
	v_add_f16_e32 v61, v62, v61
	v_fma_f16 v62, 0x3722, v49, v206
	v_add_f16_e32 v60, v62, v60
	v_fma_f16 v62, 0xb1e1, v53, v205
	v_fmac_f16_e64 v205, 0x31e1, v53
	s_delay_alu instid0(VALU_DEP_2) | instskip(SKIP_1) | instid1(VALU_DEP_1)
	v_add_f16_e32 v61, v62, v61
	v_fma_f16 v62, 0xbacd, v19, v203
	v_add_f16_e32 v60, v62, v60
	v_fma_f16 v62, 0xb964, v41, v204
	v_fmac_f16_e64 v204, 0x3964, v41
	s_delay_alu instid0(VALU_DEP_2) | instskip(SKIP_2) | instid1(VALU_DEP_2)
	v_add_f16_e32 v59, v62, v59
	v_fma_f16 v62, 0xbbb2, v52, v200
	v_fmac_f16_e64 v200, 0x3bb2, v52
	v_add_f16_e32 v61, v62, v61
	v_fma_f16 v62, 0xb8d2, v17, v178
	s_delay_alu instid0(VALU_DEP_1) | instskip(SKIP_2) | instid1(VALU_DEP_2)
	v_add_f16_e32 v60, v62, v60
	v_fma_f16 v62, 0xb964, v51, v187
	v_fmac_f16_e64 v187, 0x3964, v51
	v_add_f16_e32 v61, v62, v61
	v_fma_f16 v62, 0x35c8, v50, v177
	v_fmac_f16_e64 v177, 0xb5c8, v50
	s_delay_alu instid0(VALU_DEP_2) | instskip(SKIP_1) | instid1(VALU_DEP_1)
	v_add_f16_e32 v61, v62, v61
	v_fma_f16 v62, 0x39e9, v18, v173
	v_add_f16_e32 v60, v62, v60
	v_fma_f16 v62, 0x3bf7, v22, v175
	v_fmac_f16_e64 v175, 0xbbf7, v22
	s_delay_alu instid0(VALU_DEP_2) | instskip(SKIP_1) | instid1(VALU_DEP_1)
	v_add_f16_e32 v61, v62, v61
	v_fma_f16 v62, 0x3722, v46, v193
	v_add_f16_e64 v62, v157, v62
	s_delay_alu instid0(VALU_DEP_1) | instskip(SKIP_1) | instid1(VALU_DEP_1)
	v_add_f16_e32 v62, v63, v62
	v_fma_f16 v63, 0xbbdd, v21, v190
	v_add_f16_e32 v62, v63, v62
	v_fma_f16 v63, 0xb461, v20, v186
	s_delay_alu instid0(VALU_DEP_1) | instskip(SKIP_2) | instid1(VALU_DEP_2)
	v_add_f16_e32 v62, v63, v62
	v_fma_f16 v63, 0x3964, v54, v199
	v_fmac_f16_e64 v199, 0xb964, v54
	v_add_f16_e64 v63, v158, v63
	s_delay_alu instid0(VALU_DEP_1) | instskip(SKIP_1) | instid1(VALU_DEP_1)
	v_add_f16_e32 v63, v107, v63
	v_fma_f16 v107, 0x39e9, v49, v184
	v_add_f16_e32 v62, v107, v62
	v_fma_f16 v107, 0x3a62, v53, v195
	v_fmac_f16_e64 v195, 0xba62, v53
	v_fma_f16 v53, v21, 0xb8d2, -v167
	s_delay_alu instid0(VALU_DEP_3) | instskip(SKIP_1) | instid1(VALU_DEP_1)
	v_add_f16_e32 v63, v107, v63
	v_fma_f16 v107, 0x3b76, v19, v181
	v_add_f16_e32 v62, v107, v62
	v_fma_f16 v107, 0x3836, v41, v180
	v_fmac_f16_e64 v180, 0xb836, v41
	s_delay_alu instid0(VALU_DEP_2) | instskip(SKIP_2) | instid1(VALU_DEP_2)
	v_add_f16_e32 v61, v107, v61
	v_fma_f16 v107, 0x31e1, v52, v196
	v_fmac_f16_e64 v196, 0xb1e1, v52
	v_add_f16_e32 v63, v107, v63
	v_fma_f16 v107, 0x2de8, v17, v182
	s_delay_alu instid0(VALU_DEP_1) | instskip(SKIP_2) | instid1(VALU_DEP_2)
	v_add_f16_e32 v62, v107, v62
	v_fma_f16 v107, 0xb836, v51, v192
	v_fmac_f16_e64 v192, 0x3836, v51
	v_add_f16_e32 v63, v107, v63
	v_fma_f16 v107, 0xbbb2, v50, v188
	v_fmac_f16_e64 v188, 0x3bb2, v50
	s_delay_alu instid0(VALU_DEP_2) | instskip(SKIP_1) | instid1(VALU_DEP_1)
	v_add_f16_e32 v107, v107, v63
	v_mul_f16_e64 v63, 0xb836, v234
	v_fma_f16 v155, 0xbacd, v18, v63
	s_delay_alu instid0(VALU_DEP_1) | instskip(SKIP_2) | instid1(VALU_DEP_2)
	v_add_f16_e64 v62, v155, v62
	v_fma_f16 v155, 0xbb29, v22, v176
	v_fmac_f16_e64 v176, 0x3b29, v22
	v_add_f16_e64 v107, v155, v107
	v_fma_f16 v155, 0x39e9, v46, v174
	s_delay_alu instid0(VALU_DEP_1) | instskip(NEXT) | instid1(VALU_DEP_1)
	v_add_f16_e64 v155, v157, v155
	v_add_f16_e64 v155, v162, v155
	v_fma_f16 v162, 0xb8d2, v21, v167
	s_delay_alu instid0(VALU_DEP_1) | instskip(SKIP_1) | instid1(VALU_DEP_1)
	v_add_f16_e64 v155, v162, v155
	v_fma_f16 v162, 0xbbdd, v20, v163
	v_add_f16_e64 v155, v162, v155
	v_mul_f16_e64 v162, 0x35c8, v234
	s_delay_alu instid0(VALU_DEP_2) | instskip(SKIP_1) | instid1(VALU_DEP_3)
	v_add_f16_e64 v67, v67, v155
	v_mul_f16_e64 v155, 0x3b76, v227
	v_fma_f16 v88, 0x3b76, v18, v162
	s_delay_alu instid0(VALU_DEP_3) | instskip(SKIP_2) | instid1(VALU_DEP_2)
	v_add_f16_e32 v67, v80, v67
	v_fma_f16 v80, 0x3bf7, v52, v171
	v_fmac_f16_e64 v171, 0xbbf7, v52
	v_add_f16_e32 v64, v80, v64
	v_fma_f16 v80, 0x3722, v17, v164
	s_delay_alu instid0(VALU_DEP_1) | instskip(SKIP_3) | instid1(VALU_DEP_3)
	v_add_f16_e32 v67, v80, v67
	v_fma_f16 v80, 0x3bb2, v51, v169
	v_fmac_f16_e64 v169, 0xbbb2, v51
	v_pack_b32_f16 v51, v60, v59
	v_add_f16_e32 v80, v80, v64
	v_fma_f16 v64, 0xb5c8, v41, v155
	v_fmac_f16_e64 v155, 0x35c8, v41
	s_delay_alu instid0(VALU_DEP_2) | instskip(SKIP_4) | instid1(VALU_DEP_3)
	v_add_f16_e32 v64, v64, v107
	v_add_f16_e32 v107, v88, v67
	v_add_f16_e64 v67, v159, v158
	v_mul_f16_e64 v159, 0xb8d2, v183
	v_mul_f16_e64 v183, 0xbbf7, v218
	v_add_f16_e64 v67, v161, v67
	v_mul_f16_e64 v161, 0xb964, v75
	s_delay_alu instid0(VALU_DEP_4) | instskip(SKIP_1) | instid1(VALU_DEP_4)
	v_fma_f16 v88, 0x3a62, v50, v159
	v_fmac_f16_e64 v159, 0xba62, v50
	v_add_f16_e64 v67, v160, v67
	s_delay_alu instid0(VALU_DEP_4)
	v_fma_f16 v75, 0x39e9, v45, v161
	v_mul_f16_e64 v160, 0xbacd, v185
	v_add_f16_e32 v80, v88, v80
	v_mul_f16_e64 v185, 0xbb29, v84
	v_add_f16_e32 v67, v113, v67
	v_add_f16_e32 v72, v75, v72
	v_fma_f16 v75, 0x3836, v22, v160
	v_fmac_f16_e64 v160, 0xb836, v22
	s_delay_alu instid0(VALU_DEP_4) | instskip(SKIP_1) | instid1(VALU_DEP_4)
	v_add_f16_e32 v67, v120, v67
	v_mul_f16_e64 v120, 0xb836, v229
	v_add_f16_e32 v75, v75, v80
	v_fma_f16 v80, 0x3722, v21, v185
	s_delay_alu instid0(VALU_DEP_4) | instskip(SKIP_1) | instid1(VALU_DEP_3)
	v_add_f16_e32 v67, v121, v67
	v_mul_f16_e64 v121, 0xb1e1, v234
	v_add_f16_e32 v72, v80, v72
	v_fma_f16 v80, 0x2de8, v20, v183
	s_delay_alu instid0(VALU_DEP_4) | instskip(SKIP_2) | instid1(VALU_DEP_4)
	v_add_f16_e32 v67, v122, v67
	v_mul_f16_e64 v122, 0xbbb2, v220
	v_fmamk_f16 v69, v18, 0xbbdd, v121
	v_add_f16_e32 v72, v80, v72
	s_delay_alu instid0(VALU_DEP_4) | instskip(NEXT) | instid1(VALU_DEP_4)
	v_add_f16_e32 v67, v118, v67
	v_fmamk_f16 v80, v49, 0xb461, v122
	v_mul_f16_e64 v118, 0xbbdd, v227
	s_delay_alu instid0(VALU_DEP_3) | instskip(NEXT) | instid1(VALU_DEP_3)
	v_add_f16_e64 v67, v128, v67
	v_add_f16_e32 v72, v80, v72
	s_delay_alu instid0(VALU_DEP_3)
	v_fmamk_f16 v80, v41, 0x31e1, v118
	v_mul_f16_e64 v128, 0xba62, v224
	v_fmac_f16_e32 v118, 0xb1e1, v41
	v_add_f16_e64 v67, v129, v67
	v_fma_f16 v41, v18, 0x3b76, -v162
	v_add_f16_e32 v80, v80, v75
	v_fma_f16 v75, 0xb8d2, v19, v128
	s_delay_alu instid0(VALU_DEP_4) | instskip(NEXT) | instid1(VALU_DEP_2)
	v_add_f16_e32 v67, v114, v67
	v_add_f16_e32 v72, v75, v72
	v_fmamk_f16 v75, v17, 0xbacd, v120
	s_delay_alu instid0(VALU_DEP_3) | instskip(SKIP_2) | instid1(VALU_DEP_4)
	v_add_f16_e32 v67, v96, v67
	v_mov_b32_e32 v96, v124
	v_lshrrev_b32_e32 v124, 16, v33
	v_add_f16_e32 v72, v75, v72
	s_delay_alu instid0(VALU_DEP_4)
	v_add_f16_e32 v67, v78, v67
	v_fma_f16 v75, v49, 0x2de8, -v132
	v_fma_f16 v78, v17, 0xb8d2, -v178
	v_mov_b32_e32 v132, v44
	v_add_f16_e32 v84, v69, v72
	v_fma_f16 v69, v46, 0xbbdd, -v73
	v_fma_f16 v72, v45, 0x3b76, -v77
	v_add_f16_e32 v67, v76, v67
	v_fma_f16 v73, v45, 0xb461, -v254
	v_fma_f16 v76, v49, 0x3722, -v206
	v_add_f16_e64 v69, v157, v69
	v_fma_f16 v77, v45, 0xb8d2, -v194
	v_add_f16_e32 v67, v74, v67
	v_fma_f16 v74, v19, 0x2de8, -v87
	scratch_load_b32 v87, off, off offset:56 ; 4-byte Folded Reload
	v_add_f16_e32 v69, v72, v69
	v_fma_f16 v72, v21, 0xbacd, -v86
	v_add_f16_e32 v113, v66, v67
	v_add_f16_e64 v66, v217, v68
	v_fma_f16 v67, v49, 0xb8d2, -v221
	v_add_f16_e64 v68, v158, v222
	v_add_f16_e32 v69, v72, v69
	v_fma_f16 v72, v20, 0x39e9, -v219
	v_add_f16_e64 v114, v228, v66
	v_fma_f16 v66, v17, 0xb461, -v230
	v_add_f16_e64 v68, v223, v68
	s_delay_alu instid0(VALU_DEP_4) | instskip(SKIP_1) | instid1(VALU_DEP_3)
	v_add_f16_e32 v69, v72, v69
	v_fma_f16 v72, v18, 0x2de8, -v235
	v_add_f16_e64 v68, v226, v68
	s_delay_alu instid0(VALU_DEP_3) | instskip(SKIP_1) | instid1(VALU_DEP_1)
	v_add_f16_e32 v67, v67, v69
	v_fma_f16 v69, v19, 0x3722, -v225
	v_add_f16_e32 v67, v69, v67
	v_fma_f16 v69, v45, 0x3722, -v238
	s_delay_alu instid0(VALU_DEP_2) | instskip(SKIP_2) | instid1(VALU_DEP_3)
	v_add_f16_e32 v66, v66, v67
	v_add_f16_e64 v67, v231, v68
	v_fma_f16 v68, v46, 0xbacd, -v237
	v_add_f16_e32 v66, v72, v66
	v_fma_f16 v72, v49, 0x3b76, -v243
	s_delay_alu instid0(VALU_DEP_3) | instskip(SKIP_1) | instid1(VALU_DEP_2)
	v_add_f16_e64 v68, v157, v68
	v_add_f16_e64 v67, v232, v67
	v_add_f16_e32 v68, v69, v68
	v_fma_f16 v69, v21, 0x2de8, -v239
	s_delay_alu instid0(VALU_DEP_3) | instskip(NEXT) | instid1(VALU_DEP_2)
	v_add_f16_e64 v67, v233, v67
	v_add_f16_e32 v68, v69, v68
	v_fma_f16 v69, v20, 0xb8d2, -v240
	s_delay_alu instid0(VALU_DEP_3) | instskip(NEXT) | instid1(VALU_DEP_2)
	v_add_f16_e64 v67, v236, v67
	v_add_f16_e32 v68, v69, v68
	v_add_f16_e64 v69, v158, v241
	s_delay_alu instid0(VALU_DEP_3) | instskip(NEXT) | instid1(VALU_DEP_3)
	v_add_f16_e64 v67, v246, v67
	v_add_f16_e32 v68, v72, v68
	v_fma_f16 v72, v19, 0xbbdd, -v245
	s_delay_alu instid0(VALU_DEP_4) | instskip(NEXT) | instid1(VALU_DEP_2)
	v_add_f16_e64 v69, v242, v69
	v_add_f16_e32 v68, v72, v68
	v_fma_f16 v72, v17, 0x39e9, -v248
	s_delay_alu instid0(VALU_DEP_3) | instskip(NEXT) | instid1(VALU_DEP_2)
	v_add_f16_e64 v69, v244, v69
	v_add_f16_e32 v68, v72, v68
	v_fma_f16 v72, v46, 0xb8d2, -v253
	s_delay_alu instid0(VALU_DEP_3) | instskip(NEXT) | instid1(VALU_DEP_2)
	v_add_f16_e64 v69, v247, v69
	v_add_f16_e64 v72, v157, v72
	s_delay_alu instid0(VALU_DEP_2) | instskip(NEXT) | instid1(VALU_DEP_2)
	v_add_f16_e64 v69, v249, v69
	v_add_f16_e32 v72, v73, v72
	v_fma_f16 v73, v21, 0x3b76, -v255
	s_delay_alu instid0(VALU_DEP_3) | instskip(NEXT) | instid1(VALU_DEP_2)
	v_add_f16_e64 v69, v250, v69
	v_add_f16_e32 v72, v73, v72
	v_fma_f16 v73, v18, 0xb461, -v251
	s_delay_alu instid0(VALU_DEP_3) | instskip(NEXT) | instid1(VALU_DEP_2)
	v_add_f16_e64 v69, v252, v69
	v_add_f16_e32 v68, v73, v68
	v_fma_f16 v73, v20, 0xbacd, -v106
	s_delay_alu instid0(VALU_DEP_3)
	v_add_f16_e32 v69, v70, v69
	v_fma_f16 v70, v17, 0xbbdd, -v116
	v_mov_b32_e32 v106, v156
	v_mov_b32_e32 v116, v149
	v_add_f16_e32 v72, v73, v72
	v_add_f16_e64 v73, v158, v97
	v_dual_mov_b32 v97, v130 :: v_dual_mov_b32 v130, v144
	v_mov_b32_e32 v144, v16
	s_delay_alu instid0(VALU_DEP_4) | instskip(NEXT) | instid1(VALU_DEP_4)
	v_add_f16_e32 v72, v75, v72
	v_add_f16_e32 v73, v99, v73
	v_mov_b32_e32 v99, v131
	v_mov_b32_e32 v131, v15
	s_clause 0x1
	scratch_load_b32 v15, off, off offset:84 th:TH_LOAD_LU
	scratch_load_b32 v16, off, off offset:88 th:TH_LOAD_LU
	v_fma_f16 v75, v19, 0x39e9, -v104
	v_add_f16_e32 v73, v103, v73
	v_mov_b32_e32 v103, v133
	v_mov_b32_e32 v133, v147
	;; [unrolled: 1-line block ×3, first 2 shown]
	v_add_f16_e32 v72, v75, v72
	v_add_f16_e32 v71, v71, v73
	v_fma_f16 v73, v46, 0xb461, -v111
	v_fma_f16 v75, v45, 0xbacd, -v112
	v_mov_b32_e32 v112, v140
	v_add_f16_e32 v70, v70, v72
	v_fma_f16 v72, v21, 0x39e9, -v117
	v_mov_b32_e32 v117, v126
	v_add_f16_e64 v73, v157, v73
	v_mov_b32_e32 v126, v42
	v_mov_b32_e32 v42, v43
	v_add_f16_e32 v71, v108, v71
	v_dual_mov_b32 v104, v134 :: v_dual_mov_b32 v149, v135
	v_add_f16_e32 v73, v75, v73
	v_fma_f16 v75, v45, 0xbbdd, -v123
	s_delay_alu instid0(VALU_DEP_4)
	v_add_f16_e32 v71, v109, v71
	v_mov_b32_e32 v111, v139
	v_lshrrev_b32_e32 v134, 16, v34
	v_add_f16_e32 v72, v72, v73
	v_fma_f16 v73, v20, 0x3722, -v119
	v_add_f16_e64 v71, v215, v71
	v_mov_b32_e32 v119, v48
	v_mov_b32_e32 v123, v141
	v_lshrrev_b32_e32 v135, 16, v9
	v_add_f16_e32 v72, v73, v72
	v_fma_f16 v73, v18, 0x3722, -v110
	v_add_f16_e64 v71, v213, v71
	v_mov_b32_e32 v110, v138
	v_lshrrev_b32_e32 v138, 16, v3
	s_delay_alu instid0(VALU_DEP_4) | instskip(SKIP_3) | instid1(VALU_DEP_3)
	v_add_f16_e32 v70, v73, v70
	v_fma_f16 v73, v49, 0xbbdd, -v83
	v_mov_b32_e32 v83, v125
	v_dual_mov_b32 v125, v142 :: v_dual_mov_b32 v142, v56
	v_add_f16_e32 v72, v73, v72
	v_add_f16_e64 v73, v158, v79
	s_delay_alu instid0(VALU_DEP_2) | instskip(SKIP_1) | instid1(VALU_DEP_3)
	v_add_f16_e32 v72, v74, v72
	v_fma_f16 v74, v17, 0x3b76, -v214
	v_add_f16_e32 v73, v81, v73
	v_mov_b32_e32 v81, v136
	v_lshrrev_b32_e32 v136, 16, v40
	s_delay_alu instid0(VALU_DEP_4)
	v_add_f16_e32 v72, v74, v72
	v_fma_f16 v74, v46, 0x2de8, -v85
	v_mov_b32_e32 v85, v127
	v_add_f16_e64 v73, v210, v73
	v_mov_b32_e32 v127, v143
	v_mov_b32_e32 v143, v57
	v_add_f16_e64 v74, v157, v74
	s_delay_alu instid0(VALU_DEP_4) | instskip(NEXT) | instid1(VALU_DEP_2)
	v_add_f16_e64 v73, v211, v73
	v_add_f16_e32 v74, v75, v74
	v_fma_f16 v75, v21, 0xb461, -v212
	s_delay_alu instid0(VALU_DEP_3) | instskip(NEXT) | instid1(VALU_DEP_2)
	v_add_f16_e64 v73, v202, v73
	v_add_f16_e32 v74, v75, v74
	v_fma_f16 v75, v20, 0x3b76, -v209
	s_delay_alu instid0(VALU_DEP_3) | instskip(NEXT) | instid1(VALU_DEP_2)
	v_add_f16_e64 v73, v201, v73
	v_add_f16_e32 v74, v75, v74
	v_add_f16_e64 v75, v158, v207
	s_delay_alu instid0(VALU_DEP_3) | instskip(NEXT) | instid1(VALU_DEP_3)
	v_add_f16_e64 v73, v197, v73
	v_add_f16_e32 v74, v76, v74
	v_fma_f16 v76, v18, 0xb8d2, -v191
	s_delay_alu instid0(VALU_DEP_4) | instskip(NEXT) | instid1(VALU_DEP_4)
	v_add_f16_e64 v75, v208, v75
	v_add_f16_e64 v73, v204, v73
	s_delay_alu instid0(VALU_DEP_3) | instskip(SKIP_1) | instid1(VALU_DEP_4)
	v_add_f16_e32 v72, v76, v72
	v_fma_f16 v76, v19, 0xbacd, -v203
	v_add_f16_e64 v75, v205, v75
	s_delay_alu instid0(VALU_DEP_2) | instskip(SKIP_2) | instid1(VALU_DEP_4)
	v_add_f16_e32 v74, v76, v74
	v_fma_f16 v76, v46, 0x3722, -v193
	v_fma_f16 v46, v46, 0x3b76, -v189
	v_add_f16_e64 v75, v200, v75
	s_delay_alu instid0(VALU_DEP_4) | instskip(NEXT) | instid1(VALU_DEP_4)
	v_add_f16_e32 v74, v78, v74
	v_add_f16_e64 v76, v157, v76
	v_fma_f16 v78, v21, 0xbbdd, -v190
	v_add_f16_e64 v46, v157, v46
	v_fma_f16 v21, v21, 0x3722, -v185
	v_add_f16_e64 v75, v187, v75
	v_add_f16_e32 v76, v77, v76
	v_add_f16_e64 v77, v158, v199
	s_delay_alu instid0(VALU_DEP_3) | instskip(NEXT) | instid1(VALU_DEP_3)
	v_add_f16_e64 v75, v177, v75
	v_add_f16_e32 v76, v78, v76
	v_fma_f16 v78, v20, 0xb461, -v186
	s_delay_alu instid0(VALU_DEP_4) | instskip(NEXT) | instid1(VALU_DEP_4)
	v_add_f16_e64 v77, v198, v77
	v_add_f16_e64 v75, v175, v75
	s_delay_alu instid0(VALU_DEP_3) | instskip(SKIP_1) | instid1(VALU_DEP_4)
	v_add_f16_e32 v76, v78, v76
	v_fma_f16 v78, v49, 0x39e9, -v184
	v_add_f16_e64 v77, v195, v77
	s_delay_alu instid0(VALU_DEP_4) | instskip(NEXT) | instid1(VALU_DEP_3)
	v_add_f16_e64 v75, v180, v75
	v_add_f16_e32 v76, v78, v76
	v_fma_f16 v78, v18, 0x39e9, -v173
	s_delay_alu instid0(VALU_DEP_4) | instskip(NEXT) | instid1(VALU_DEP_2)
	v_add_f16_e64 v77, v196, v77
	v_add_f16_e32 v74, v78, v74
	v_fma_f16 v78, v19, 0x3b76, -v181
	s_delay_alu instid0(VALU_DEP_3) | instskip(NEXT) | instid1(VALU_DEP_2)
	v_add_f16_e64 v77, v192, v77
	v_add_f16_e32 v76, v78, v76
	v_fma_f16 v78, v17, 0x2de8, -v182
	s_delay_alu instid0(VALU_DEP_3) | instskip(NEXT) | instid1(VALU_DEP_2)
	v_add_f16_e64 v77, v188, v77
	v_add_f16_e32 v76, v78, v76
	v_fma_f16 v78, v45, 0x2de8, -v168
	v_fma_f16 v45, v45, 0x39e9, -v161
	s_delay_alu instid0(VALU_DEP_4) | instskip(SKIP_1) | instid1(VALU_DEP_4)
	v_add_f16_e64 v54, v176, v77
	v_add_f16_e64 v77, v158, v179
	v_add_f16_e32 v55, v78, v55
	s_delay_alu instid0(VALU_DEP_4)
	v_add_f16_e32 v45, v45, v46
	v_fma_f16 v46, v20, 0xbbdd, -v163
	v_fma_f16 v20, v20, 0x2de8, -v183
	v_add_f16_e64 v77, v170, v77
	v_add_f16_e32 v53, v53, v55
	v_add_f16_e32 v21, v21, v45
	v_fma_f16 v45, v49, 0xbacd, -v166
	s_delay_alu instid0(VALU_DEP_4) | instskip(NEXT) | instid1(VALU_DEP_4)
	v_add_f16_e64 v55, v172, v77
	v_add_f16_e32 v46, v46, v53
	s_delay_alu instid0(VALU_DEP_4)
	v_add_f16_e32 v20, v20, v21
	v_fma_f16 v21, v49, 0xb461, -v122
	v_fma_f16 v49, v19, 0xb461, -v165
	;; [unrolled: 1-line block ×3, first 2 shown]
	v_add_f16_e32 v45, v45, v46
	v_add_f16_e64 v52, v171, v55
	v_add_f16_e32 v20, v21, v20
	v_fma_f16 v21, v17, 0x3722, -v164
	v_fma_f16 v17, v17, 0xbacd, -v120
	v_add_f16_e32 v45, v49, v45
	v_add_f16_e64 v46, v169, v52
	v_add_f16_e32 v19, v19, v20
	v_fma_f16 v20, v18, 0xbacd, -v63
	v_fma_f16 v18, v18, 0xbbdd, -v121
	v_add_f16_e32 v21, v21, v45
	v_add_f16_e64 v46, v159, v46
	v_add_f16_e32 v17, v17, v19
	v_pack_b32_f16 v49, v107, v64
	v_add_f16_e32 v20, v20, v76
	v_add_f16_e32 v21, v41, v21
	v_pack_b32_f16 v41, v84, v80
	v_add_f16_e64 v22, v160, v46
	v_pack_b32_f16 v46, v62, v61
	v_add_f16_e32 v17, v18, v17
	v_add_f16_e64 v45, v155, v54
	v_lshrrev_b32_e32 v121, 16, v7
	v_add_f16_e32 v22, v118, v22
	v_pack_b32_f16 v20, v20, v75
	s_delay_alu instid0(VALU_DEP_4) | instskip(NEXT) | instid1(VALU_DEP_3)
	v_pack_b32_f16 v21, v21, v45
	v_pack_b32_f16 v17, v17, v22
	s_wait_loadcnt 0x0
	v_lshl_add_u32 v19, v16, 2, v15
	s_clause 0x1
	scratch_load_b32 v15, off, off offset:60 th:TH_LOAD_LU
	scratch_load_b32 v16, off, off offset:96 th:TH_LOAD_LU
	s_wait_loadcnt 0x1
	v_pack_b32_f16 v15, v15, v113
	s_wait_loadcnt 0x0
	v_pack_b32_f16 v50, v58, v16
	s_clause 0x1
	scratch_load_b32 v16, off, off offset:72 th:TH_LOAD_LU
	scratch_load_b32 v43, off, off offset:76 th:TH_LOAD_LU
	s_wait_loadcnt 0x0
	v_pack_b32_f16 v44, v43, v16
	s_clause 0x1
	scratch_load_b32 v16, off, off offset:80 th:TH_LOAD_LU
	scratch_load_b32 v43, off, off offset:92 th:TH_LOAD_LU
	s_wait_loadcnt 0x0
	v_pack_b32_f16 v47, v43, v16
	ds_store_2addr_b32 v19, v15, v41 offset1:1
	ds_store_2addr_b32 v19, v49, v46 offset0:2 offset1:3
	ds_store_2addr_b32 v19, v51, v50 offset0:4 offset1:5
	;; [unrolled: 1-line block ×3, first 2 shown]
	s_clause 0x1
	scratch_load_b32 v16, off, off offset:64 th:TH_LOAD_LU
	scratch_load_b32 v18, off, off offset:68 th:TH_LOAD_LU
	v_pack_b32_f16 v15, v66, v114
	v_pack_b32_f16 v41, v68, v67
	;; [unrolled: 1-line block ×4, first 2 shown]
	s_wait_loadcnt 0x0
	v_pack_b32_f16 v16, v18, v16
	v_pack_b32_f16 v18, v70, v69
	ds_store_2addr_b32 v19, v16, v15 offset0:8 offset1:9
	ds_store_2addr_b32 v19, v41, v18 offset0:10 offset1:11
	;; [unrolled: 1-line block ×4, first 2 shown]
	ds_store_b32 v19, v17 offset:64
.LBB0_13:
	s_wait_alu 0xfffe
	s_or_b32 exec_lo, exec_lo, s0
	global_wb scope:SCOPE_SE
	s_wait_storecnt_dscnt 0x0
	s_barrier_signal -1
	s_barrier_wait -1
	global_inv scope:SCOPE_SE
	ds_load_2addr_b32 v[16:17], v65 offset1:17
	ds_load_2addr_b32 v[18:19], v65 offset0:102 offset1:119
	ds_load_2addr_b32 v[20:21], v65 offset0:238 offset1:255
	;; [unrolled: 1-line block ×3, first 2 shown]
	v_add_nc_u32_e32 v15, 0x400, v65
	ds_load_2addr_b32 v[45:46], v65 offset0:34 offset1:51
	ds_load_2addr_b32 v[47:48], v15 offset0:16 offset1:33
	;; [unrolled: 1-line block ×6, first 2 shown]
	ds_load_b32 v22, v65 offset:1360
	global_wb scope:SCOPE_SE
	s_wait_dscnt 0x0
	s_barrier_signal -1
	s_barrier_wait -1
	global_inv scope:SCOPE_SE
	s_mov_b32 s8, 0x16f26017
	s_mov_b32 s9, 0x3f66f260
	v_lshrrev_b32_e32 v41, 16, v16
	v_lshrrev_b32_e32 v57, 16, v19
	;; [unrolled: 1-line block ×5, first 2 shown]
	v_mul_f16_e32 v78, v119, v19
	v_mul_f16_e32 v76, v119, v57
	;; [unrolled: 1-line block ×3, first 2 shown]
	v_lshrrev_b32_e32 v63, 16, v44
	v_lshrrev_b32_e32 v66, 16, v47
	v_fma_f16 v57, v23, v57, -v78
	v_fmac_f16_e32 v76, v23, v19
	v_mul_f16_e32 v19, v117, v20
	v_mul_f16_e32 v78, v119, v60
	v_fmac_f16_e32 v80, v24, v20
	v_mul_f16_e32 v20, v119, v43
	v_lshrrev_b32_e32 v67, 16, v49
	v_fma_f16 v19, v24, v58, -v19
	v_mul_f16_e32 v58, v117, v61
	v_fmac_f16_e32 v78, v23, v43
	v_mul_f16_e32 v43, v117, v21
	v_fma_f16 v20, v23, v60, -v20
	v_mul_f16_e32 v23, v124, v63
	v_fmac_f16_e32 v58, v24, v21
	v_mul_f16_e32 v21, v124, v44
	v_lshrrev_b32_e32 v68, 16, v48
	v_fma_f16 v24, v24, v61, -v43
	v_mul_f16_e64 v43, v134, v66
	v_fmac_f16_e32 v23, v33, v44
	v_mul_f16_e64 v44, v134, v47
	v_fma_f16 v21, v33, v63, -v21
	v_mul_f16_e64 v33, v133, v67
	v_lshrrev_b32_e32 v70, 16, v50
	v_lshrrev_b32_e32 v71, 16, v53
	v_fmac_f16_e32 v43, v34, v47
	v_mul_f16_e64 v47, v133, v49
	v_fma_f16 v34, v34, v66, -v44
	v_mul_f16_e64 v44, v132, v68
	v_fmac_f16_e32 v33, v31, v49
	v_mul_f16_e64 v49, v132, v48
	v_lshrrev_b32_e32 v73, 16, v55
	v_fma_f16 v31, v31, v67, -v47
	v_mul_f16_e64 v47, v131, v70
	v_fmac_f16_e32 v44, v32, v48
	v_mul_f16_e64 v48, v131, v50
	v_fma_f16 v32, v32, v68, -v49
	v_mul_f16_e64 v49, v130, v71
	v_lshrrev_b32_e32 v74, 16, v54
	v_lshrrev_b32_e32 v77, 16, v56
	v_fmac_f16_e32 v47, v29, v50
	v_mul_f16_e64 v50, v130, v53
	v_fma_f16 v29, v29, v70, -v48
	v_mul_f16_e32 v48, v127, v73
	v_fmac_f16_e32 v49, v30, v53
	v_mul_f16_e32 v53, v127, v55
	v_lshrrev_b32_e32 v79, 16, v22
	v_fma_f16 v30, v30, v71, -v50
	v_mul_f16_e32 v50, v125, v74
	v_fmac_f16_e32 v48, v27, v55
	v_mul_f16_e32 v55, v125, v54
	v_fma_f16 v27, v27, v73, -v53
	v_mul_f16_e32 v53, v123, v77
	v_fmac_f16_e32 v50, v28, v54
	v_mul_f16_e32 v54, v123, v56
	v_fma_f16 v28, v28, v74, -v55
	v_mul_f16_e32 v55, v112, v79
	v_fmac_f16_e32 v53, v25, v56
	v_mul_f16_e32 v56, v112, v22
	v_fma_f16 v25, v25, v77, -v54
	v_add_f16_e32 v54, v76, v80
	v_fmac_f16_e32 v55, v26, v22
	v_add_f16_e32 v22, v16, v76
	v_fma_f16 v26, v26, v79, -v56
	v_add_f16_e32 v56, v57, v19
	v_fma_f16 v16, -0.5, v54, v16
	v_sub_f16_e32 v54, v57, v19
	v_add_f16_e32 v57, v41, v57
	v_lshrrev_b32_e32 v59, 16, v17
	v_fmac_f16_e32 v41, -0.5, v56
	v_sub_f16_e32 v56, v76, v80
	v_fmamk_f16 v60, v54, 0xbaee, v16
	v_fmac_f16_e32 v16, 0x3aee, v54
	v_add_f16_e32 v19, v57, v19
	v_add_f16_e32 v54, v78, v58
	v_fmamk_f16 v57, v56, 0x3aee, v41
	v_fmac_f16_e32 v41, 0xbaee, v56
	v_add_f16_e32 v56, v20, v24
	v_add_f16_e32 v61, v17, v78
	v_fmac_f16_e32 v17, -0.5, v54
	v_sub_f16_e32 v54, v20, v24
	v_add_f16_e32 v20, v59, v20
	v_fmac_f16_e32 v59, -0.5, v56
	v_sub_f16_e32 v56, v78, v58
	v_lshrrev_b32_e32 v62, 16, v45
	v_add_f16_e32 v61, v61, v58
	v_fmamk_f16 v58, v54, 0xbaee, v17
	v_fmac_f16_e32 v17, 0x3aee, v54
	v_add_f16_e32 v20, v20, v24
	v_add_f16_e32 v24, v23, v43
	v_fmamk_f16 v54, v56, 0x3aee, v59
	v_fmac_f16_e32 v59, 0xbaee, v56
	v_add_f16_e32 v56, v21, v34
	v_add_f16_e32 v63, v45, v23
	v_fma_f16 v24, -0.5, v24, v45
	v_sub_f16_e32 v45, v21, v34
	v_add_f16_e32 v21, v62, v21
	v_fmac_f16_e32 v62, -0.5, v56
	v_sub_f16_e32 v23, v23, v43
	v_lshrrev_b32_e32 v64, 16, v46
	v_add_f16_e32 v63, v63, v43
	v_fmamk_f16 v43, v45, 0xbaee, v24
	v_fmac_f16_e32 v24, 0x3aee, v45
	v_add_f16_e32 v21, v21, v34
	v_add_f16_e32 v34, v33, v44
	v_fmamk_f16 v45, v23, 0x3aee, v62
	v_fmac_f16_e32 v62, 0xbaee, v23
	v_add_f16_e32 v23, v31, v32
	v_add_f16_e32 v56, v46, v33
	v_fmac_f16_e32 v46, -0.5, v34
	v_sub_f16_e32 v34, v31, v32
	v_add_f16_e32 v31, v64, v31
	v_fmac_f16_e32 v64, -0.5, v23
	v_sub_f16_e32 v23, v33, v44
	v_lshrrev_b32_e32 v69, 16, v51
	v_fmamk_f16 v33, v34, 0xbaee, v46
	v_fmac_f16_e32 v46, 0x3aee, v34
	v_add_f16_e32 v31, v31, v32
	v_add_f16_e32 v32, v47, v49
	v_fmamk_f16 v34, v23, 0x3aee, v64
	v_fmac_f16_e32 v64, 0xbaee, v23
	v_add_f16_e32 v23, v29, v30
	v_add_f16_e32 v56, v56, v44
	;; [unrolled: 1-line block ×3, first 2 shown]
	v_fma_f16 v32, -0.5, v32, v51
	v_sub_f16_e32 v51, v29, v30
	v_add_f16_e32 v29, v69, v29
	v_fmac_f16_e32 v69, -0.5, v23
	v_sub_f16_e32 v23, v47, v49
	v_lshrrev_b32_e32 v72, 16, v52
	v_add_f16_e32 v44, v44, v49
	v_add_f16_e32 v29, v29, v30
	v_add_f16_e32 v30, v48, v50
	v_fmamk_f16 v49, v23, 0x3aee, v69
	v_fmac_f16_e32 v69, 0xbaee, v23
	v_add_f16_e32 v23, v27, v28
	v_fmamk_f16 v47, v51, 0xbaee, v32
	v_fmac_f16_e32 v32, 0x3aee, v51
	v_add_f16_e32 v51, v52, v48
	v_fmac_f16_e32 v52, -0.5, v30
	v_sub_f16_e32 v30, v27, v28
	v_add_f16_e32 v27, v72, v27
	v_fmac_f16_e32 v72, -0.5, v23
	v_sub_f16_e32 v23, v48, v50
	v_add_f16_e32 v22, v22, v80
	v_lshrrev_b32_e32 v75, 16, v18
	v_fmamk_f16 v48, v30, 0xbaee, v52
	v_fmac_f16_e32 v52, 0x3aee, v30
	v_add_f16_e32 v27, v27, v28
	v_add_f16_e32 v28, v53, v55
	v_fmamk_f16 v30, v23, 0x3aee, v72
	v_fmac_f16_e32 v72, 0xbaee, v23
	v_add_f16_e32 v23, v25, v26
	v_pack_b32_f16 v19, v22, v19
	v_pack_b32_f16 v22, v60, v57
	v_add_f16_e32 v51, v51, v50
	v_add_f16_e32 v50, v18, v53
	v_fmac_f16_e32 v18, -0.5, v28
	v_sub_f16_e32 v28, v25, v26
	v_add_f16_e32 v25, v75, v25
	v_fmac_f16_e32 v75, -0.5, v23
	v_sub_f16_e32 v23, v53, v55
	ds_store_2addr_b32 v65, v19, v22 offset1:17
	v_pack_b32_f16 v16, v16, v41
	v_pack_b32_f16 v19, v61, v20
	;; [unrolled: 1-line block ×6, first 2 shown]
	v_add_f16_e32 v50, v50, v55
	v_fmamk_f16 v53, v28, 0xbaee, v18
	v_fmac_f16_e32 v18, 0x3aee, v28
	v_add_f16_e32 v25, v25, v26
	v_fmamk_f16 v26, v23, 0x3aee, v75
	v_fmac_f16_e32 v75, 0xbaee, v23
	v_pack_b32_f16 v23, v56, v31
	v_pack_b32_f16 v28, v33, v34
	ds_store_2addr_b32 v65, v16, v19 offset0:34 offset1:51
	ds_store_2addr_b32 v65, v20, v17 offset0:68 offset1:85
	;; [unrolled: 1-line block ×3, first 2 shown]
	v_pack_b32_f16 v19, v44, v29
	v_pack_b32_f16 v20, v47, v49
	;; [unrolled: 1-line block ×3, first 2 shown]
	ds_store_2addr_b32 v110, v23, v28 offset0:153 offset1:170
	v_pack_b32_f16 v21, v51, v27
	v_pack_b32_f16 v22, v48, v30
	v_add_nc_u32_e32 v23, 0x200, v106
	v_pack_b32_f16 v24, v50, v25
	v_pack_b32_f16 v25, v53, v26
	v_add_nc_u32_e32 v26, 0x400, v150
	v_pack_b32_f16 v17, v46, v64
	ds_store_2addr_b32 v111, v19, v20 offset0:204 offset1:221
	v_pack_b32_f16 v19, v32, v69
	v_pack_b32_f16 v20, v52, v72
	;; [unrolled: 1-line block ×3, first 2 shown]
	ds_store_2addr_b32 v23, v21, v22 offset0:127 offset1:144
	ds_store_2addr_b32 v26, v24, v25 offset0:50 offset1:67
	ds_store_b32 v151, v16 offset:544
	ds_store_b32 v110, v17 offset:748
	;; [unrolled: 1-line block ×5, first 2 shown]
	global_wb scope:SCOPE_SE
	s_wait_dscnt 0x0
	s_barrier_signal -1
	s_barrier_wait -1
	global_inv scope:SCOPE_SE
	ds_load_2addr_b32 v[16:17], v65 offset1:17
	ds_load_2addr_b32 v[18:19], v65 offset0:34 offset1:51
	ds_load_2addr_b32 v[20:21], v65 offset0:102 offset1:119
	;; [unrolled: 1-line block ×9, first 2 shown]
	ds_load_b32 v45, v65 offset:1360
	s_wait_dscnt 0xa
	v_lshrrev_b32_e32 v34, 16, v16
	s_wait_dscnt 0x9
	v_lshrrev_b32_e32 v41, 16, v19
	;; [unrolled: 2-line block ×6, first 2 shown]
	v_mul_f16_e64 v61, v148, v41
	s_wait_dscnt 0x4
	v_lshrrev_b32_e32 v50, 16, v28
	v_mul_f16_e64 v67, v147, v46
	v_mul_f16_e64 v68, v147, v20
	;; [unrolled: 1-line block ×3, first 2 shown]
	v_fmac_f16_e32 v61, v4, v19
	v_mul_f16_e64 v19, v148, v19
	s_wait_dscnt 0x3
	v_lshrrev_b32_e32 v52, 16, v30
	v_lshrrev_b32_e32 v53, 16, v21
	v_mul_f16_e64 v70, v146, v23
	v_fmac_f16_e32 v67, v5, v20
	v_fma_f16 v4, v4, v41, -v19
	v_fma_f16 v5, v5, v46, -v68
	v_fmac_f16_e32 v69, v6, v23
	v_mul_f16_e32 v19, v121, v48
	v_mul_f16_e32 v20, v121, v24
	v_mul_f16_e64 v23, v145, v49
	v_mul_f16_e64 v41, v145, v27
	v_mul_f16_e64 v46, v144, v50
	s_wait_dscnt 0x2
	v_lshrrev_b32_e32 v54, 16, v32
	v_lshrrev_b32_e32 v55, 16, v25
	s_wait_dscnt 0x1
	v_lshrrev_b32_e32 v56, 16, v43
	v_fmac_f16_e32 v19, v7, v24
	v_fma_f16 v7, v7, v48, -v20
	v_fmac_f16_e32 v23, v35, v27
	v_fma_f16 v20, v35, v49, -v41
	v_fmac_f16_e32 v46, v36, v28
	v_mul_f16_e64 v24, v144, v28
	v_mul_f16_e64 v27, v143, v52
	;; [unrolled: 1-line block ×5, first 2 shown]
	v_lshrrev_b32_e32 v57, 16, v29
	v_lshrrev_b32_e32 v59, 16, v31
	v_fma_f16 v24, v36, v50, -v24
	v_fmac_f16_e32 v27, v8, v30
	v_fma_f16 v8, v8, v52, -v28
	v_fmac_f16_e32 v35, v9, v21
	v_fma_f16 v9, v9, v53, -v41
	v_mul_f16_e32 v21, v126, v54
	v_mul_f16_e32 v28, v126, v32
	;; [unrolled: 1-line block ×5, first 2 shown]
	v_lshrrev_b32_e32 v60, 16, v22
	v_lshrrev_b32_e32 v62, 16, v33
	;; [unrolled: 1-line block ×3, first 2 shown]
	v_fmac_f16_e32 v21, v10, v32
	v_fma_f16 v10, v10, v54, -v28
	v_fmac_f16_e32 v30, v11, v25
	v_fma_f16 v11, v11, v55, -v36
	v_fmac_f16_e32 v41, v37, v43
	v_mul_f16_e32 v25, v115, v43
	v_mul_f16_e64 v28, v142, v57
	v_mul_f16_e64 v32, v142, v29
	;; [unrolled: 1-line block ×4, first 2 shown]
	v_lshrrev_b32_e32 v64, 16, v44
	v_fma_f16 v25, v37, v56, -v25
	v_fmac_f16_e32 v28, v38, v29
	v_fma_f16 v29, v38, v57, -v32
	v_fmac_f16_e32 v36, v0, v31
	v_fma_f16 v0, v0, v59, -v43
	v_mul_f16_e64 v31, v153, v60
	v_mul_f16_e64 v32, v153, v22
	;; [unrolled: 1-line block ×5, first 2 shown]
	s_wait_dscnt 0x0
	v_lshrrev_b32_e32 v66, 16, v45
	v_fmac_f16_e32 v31, v1, v22
	v_fma_f16 v1, v1, v60, -v32
	v_fmac_f16_e32 v37, v2, v33
	v_fma_f16 v2, v2, v62, -v38
	v_fmac_f16_e32 v43, v3, v26
	v_mul_f16_e64 v22, v138, v26
	v_mul_f16_e64 v26, v137, v64
	;; [unrolled: 1-line block ×4, first 2 shown]
	v_fma_f16 v6, v6, v47, -v70
	v_mul_f16_e64 v33, v136, v66
	v_fma_f16 v3, v3, v63, -v22
	v_fmac_f16_e32 v26, v39, v44
	v_fma_f16 v22, v39, v64, -v32
	v_fma_f16 v32, v40, v66, -v38
	v_add_f16_e32 v38, v61, v46
	v_add_f16_e32 v39, v4, v24
	v_sub_f16_e32 v4, v4, v24
	v_add_f16_e32 v24, v67, v23
	v_add_f16_e32 v44, v5, v20
	v_fmac_f16_e32 v33, v40, v45
	v_sub_f16_e32 v40, v61, v46
	v_sub_f16_e32 v23, v67, v23
	;; [unrolled: 1-line block ×3, first 2 shown]
	v_add_f16_e32 v20, v69, v19
	v_add_f16_e32 v45, v6, v7
	v_sub_f16_e32 v19, v19, v69
	v_sub_f16_e32 v6, v7, v6
	v_add_f16_e32 v7, v24, v38
	v_add_f16_e32 v46, v44, v39
	v_sub_f16_e32 v47, v24, v38
	v_sub_f16_e32 v48, v44, v39
	;; [unrolled: 1-line block ×6, first 2 shown]
	v_add_f16_e32 v49, v19, v23
	v_add_f16_e32 v50, v6, v5
	v_sub_f16_e32 v52, v19, v23
	v_sub_f16_e32 v53, v6, v5
	;; [unrolled: 1-line block ×3, first 2 shown]
	v_add_f16_e32 v7, v20, v7
	v_add_f16_e32 v20, v45, v46
	v_sub_f16_e32 v5, v5, v4
	v_sub_f16_e32 v19, v40, v19
	;; [unrolled: 1-line block ×3, first 2 shown]
	v_add_f16_e32 v40, v49, v40
	v_add_f16_e32 v4, v50, v4
	;; [unrolled: 1-line block ×4, first 2 shown]
	v_mul_f16_e32 v38, 0x3a52, v38
	v_mul_f16_e32 v39, 0x3a52, v39
	v_mul_f16_e32 v45, 0x2b26, v24
	v_mul_f16_e32 v46, 0x2b26, v44
	v_mul_f16_e32 v49, 0x3846, v52
	v_mul_f16_e32 v50, 0x3846, v53
	v_mul_f16_e32 v52, 0xbb00, v23
	v_mul_f16_e32 v53, 0xbb00, v5
	v_fmamk_f16 v7, v7, 0xbcab, v16
	v_fmamk_f16 v20, v20, 0xbcab, v34
	;; [unrolled: 1-line block ×4, first 2 shown]
	v_fma_f16 v45, v47, 0x39e0, -v45
	v_fma_f16 v46, v48, 0x39e0, -v46
	;; [unrolled: 1-line block ×4, first 2 shown]
	v_fmamk_f16 v47, v19, 0xb574, v49
	v_fmamk_f16 v48, v6, 0xb574, v50
	v_fma_f16 v19, v19, 0x3574, -v52
	v_fma_f16 v6, v6, 0x3574, -v53
	;; [unrolled: 1-line block ×4, first 2 shown]
	v_add_f16_e32 v24, v24, v7
	v_add_f16_e32 v44, v44, v20
	;; [unrolled: 1-line block ×6, first 2 shown]
	v_fmac_f16_e32 v47, 0xb70e, v40
	v_fmac_f16_e32 v48, 0xb70e, v4
	;; [unrolled: 1-line block ×6, first 2 shown]
	v_add_f16_e32 v4, v48, v24
	v_sub_f16_e32 v38, v44, v47
	v_add_f16_e32 v39, v6, v7
	v_sub_f16_e32 v40, v20, v19
	v_sub_f16_e32 v6, v7, v6
	v_add_f16_e32 v7, v19, v20
	v_sub_f16_e32 v19, v24, v48
	v_add_f16_e32 v20, v47, v44
	v_add_f16_e32 v24, v27, v28
	v_add_f16_e32 v44, v8, v29
	v_sub_f16_e32 v27, v27, v28
	v_sub_f16_e32 v8, v8, v29
	v_add_f16_e32 v28, v35, v41
	v_add_f16_e32 v29, v9, v25
	v_sub_f16_e32 v35, v35, v41
	v_sub_f16_e32 v9, v9, v25
	v_add_f16_e32 v25, v21, v30
	v_add_f16_e32 v41, v10, v11
	;; [unrolled: 4-line block ×3, first 2 shown]
	v_lshrrev_b32_e32 v51, 16, v17
	v_sub_f16_e32 v49, v45, v5
	v_add_f16_e32 v50, v23, v46
	v_add_f16_e32 v5, v5, v45
	v_sub_f16_e32 v23, v46, v23
	v_sub_f16_e32 v45, v28, v24
	v_sub_f16_e32 v46, v29, v44
	v_sub_f16_e32 v24, v24, v25
	v_sub_f16_e32 v44, v44, v41
	v_sub_f16_e32 v28, v25, v28
	v_sub_f16_e32 v29, v41, v29
	v_add_f16_e32 v47, v21, v35
	v_add_f16_e32 v48, v10, v9
	v_sub_f16_e32 v52, v21, v35
	v_sub_f16_e32 v53, v10, v9
	;; [unrolled: 1-line block ×3, first 2 shown]
	v_add_f16_e32 v11, v25, v11
	v_add_f16_e32 v25, v41, v30
	v_sub_f16_e32 v9, v9, v8
	v_sub_f16_e32 v21, v27, v21
	;; [unrolled: 1-line block ×3, first 2 shown]
	v_add_f16_e32 v27, v47, v27
	v_add_f16_e32 v8, v48, v8
	;; [unrolled: 1-line block ×4, first 2 shown]
	v_mul_f16_e32 v24, 0x3a52, v24
	v_mul_f16_e32 v41, 0x3a52, v44
	;; [unrolled: 1-line block ×8, first 2 shown]
	v_fmamk_f16 v11, v11, 0xbcab, v17
	v_fmamk_f16 v25, v25, 0xbcab, v30
	;; [unrolled: 1-line block ×4, first 2 shown]
	v_fma_f16 v44, v45, 0x39e0, -v44
	v_fma_f16 v47, v46, 0x39e0, -v47
	;; [unrolled: 1-line block ×4, first 2 shown]
	v_fmamk_f16 v45, v21, 0xb574, v48
	v_fmamk_f16 v46, v10, 0xb574, v51
	v_fma_f16 v21, v21, 0x3574, -v52
	v_fma_f16 v10, v10, 0x3574, -v53
	;; [unrolled: 1-line block ×4, first 2 shown]
	v_add_f16_e32 v28, v28, v11
	v_add_f16_e32 v29, v29, v25
	;; [unrolled: 1-line block ×5, first 2 shown]
	v_fmac_f16_e32 v45, 0xb70e, v27
	v_fmac_f16_e32 v46, 0xb70e, v8
	;; [unrolled: 1-line block ×4, first 2 shown]
	v_add_f16_e32 v47, v47, v25
	v_fmac_f16_e32 v35, 0xb70e, v27
	v_fmac_f16_e32 v9, 0xb70e, v8
	v_add_f16_e32 v8, v46, v28
	v_sub_f16_e32 v25, v29, v45
	v_add_f16_e32 v27, v10, v11
	v_sub_f16_e32 v41, v24, v21
	v_sub_f16_e32 v10, v11, v10
	v_add_f16_e32 v11, v21, v24
	v_sub_f16_e32 v21, v28, v46
	v_add_f16_e32 v24, v45, v29
	v_add_f16_e32 v28, v36, v33
	;; [unrolled: 1-line block ×3, first 2 shown]
	v_sub_f16_e32 v33, v36, v33
	v_sub_f16_e32 v0, v0, v32
	v_add_f16_e32 v32, v31, v26
	v_add_f16_e32 v36, v1, v22
	v_sub_f16_e32 v26, v31, v26
	v_sub_f16_e32 v1, v1, v22
	v_add_f16_e32 v22, v37, v43
	v_add_f16_e32 v31, v2, v3
	;; [unrolled: 4-line block ×3, first 2 shown]
	v_lshrrev_b32_e32 v58, 16, v18
	v_sub_f16_e32 v48, v44, v9
	v_add_f16_e32 v51, v35, v47
	v_add_f16_e32 v9, v9, v44
	v_sub_f16_e32 v35, v47, v35
	v_sub_f16_e32 v44, v32, v28
	;; [unrolled: 1-line block ×7, first 2 shown]
	v_add_f16_e32 v46, v37, v26
	v_add_f16_e32 v47, v2, v1
	v_sub_f16_e32 v52, v37, v26
	v_sub_f16_e32 v53, v2, v1
	;; [unrolled: 1-line block ×3, first 2 shown]
	v_add_f16_e32 v3, v22, v3
	v_add_f16_e32 v22, v31, v43
	v_sub_f16_e32 v1, v1, v0
	v_sub_f16_e32 v37, v33, v37
	;; [unrolled: 1-line block ×3, first 2 shown]
	v_add_f16_e32 v31, v46, v33
	v_add_f16_e32 v0, v47, v0
	;; [unrolled: 1-line block ×4, first 2 shown]
	v_mul_f16_e32 v28, 0x3a52, v28
	v_mul_f16_e32 v29, 0x3a52, v29
	;; [unrolled: 1-line block ×8, first 2 shown]
	v_fmamk_f16 v3, v3, 0xbcab, v18
	v_fmamk_f16 v22, v22, 0xbcab, v33
	;; [unrolled: 1-line block ×4, first 2 shown]
	v_fma_f16 v43, v44, 0x39e0, -v43
	v_fma_f16 v46, v45, 0x39e0, -v46
	;; [unrolled: 1-line block ×4, first 2 shown]
	v_fmamk_f16 v44, v37, 0xb574, v47
	v_fmamk_f16 v45, v2, 0xb574, v52
	v_fma_f16 v37, v37, 0x3574, -v53
	v_fma_f16 v2, v2, 0x3574, -v54
	;; [unrolled: 1-line block ×4, first 2 shown]
	v_add_f16_e32 v32, v32, v3
	v_add_f16_e32 v36, v36, v22
	;; [unrolled: 1-line block ×6, first 2 shown]
	v_fmac_f16_e32 v2, 0xb70e, v0
	v_fmac_f16_e32 v37, 0xb70e, v31
	;; [unrolled: 1-line block ×6, first 2 shown]
	v_add_f16_e32 v29, v2, v3
	v_sub_f16_e32 v31, v22, v37
	v_sub_f16_e32 v2, v3, v2
	v_add_f16_e32 v3, v37, v22
	v_pack_b32_f16 v22, v39, v40
	v_pack_b32_f16 v37, v49, v50
	;; [unrolled: 1-line block ×5, first 2 shown]
	v_add_f16_e32 v0, v45, v32
	v_sub_f16_e32 v28, v36, v44
	v_pack_b32_f16 v16, v16, v34
	v_pack_b32_f16 v17, v17, v30
	v_sub_f16_e32 v47, v43, v1
	v_add_f16_e32 v52, v26, v46
	v_add_f16_e32 v1, v1, v43
	v_sub_f16_e32 v26, v46, v26
	v_pack_b32_f16 v8, v8, v25
	v_pack_b32_f16 v19, v27, v41
	v_sub_f16_e32 v32, v32, v45
	v_add_f16_e32 v36, v44, v36
	v_pack_b32_f16 v20, v48, v51
	v_pack_b32_f16 v9, v9, v35
	ds_store_2addr_b32 v65, v22, v37 offset0:102 offset1:153
	ds_store_2addr_b32 v65, v5, v6 offset0:204 offset1:255
	ds_store_b32 v65, v7 offset:1224
	ds_store_2addr_b32 v65, v16, v17 offset1:17
	ds_store_2addr_b32 v149, v8, v19 offset0:51 offset1:102
	ds_store_2addr_b32 v149, v20, v9 offset0:153 offset1:204
	v_pack_b32_f16 v5, v10, v11
	v_pack_b32_f16 v6, v21, v24
	v_add_nc_u32_e32 v7, 0x200, v149
	v_pack_b32_f16 v4, v4, v38
	v_pack_b32_f16 v8, v18, v33
	;; [unrolled: 1-line block ×8, first 2 shown]
	v_add_nc_u32_e32 v11, 0x200, v42
	ds_store_2addr_b32 v7, v5, v6 offset0:127 offset1:178
	ds_store_2addr_b32 v65, v8, v4 offset0:34 offset1:51
	;; [unrolled: 1-line block ×5, first 2 shown]
	global_wb scope:SCOPE_SE
	s_wait_dscnt 0x0
	s_barrier_signal -1
	s_barrier_wait -1
	global_inv scope:SCOPE_SE
	ds_load_2addr_b32 v[0:1], v65 offset1:21
	v_lshrrev_b32_e32 v5, 16, v101
	v_lshrrev_b32_e32 v10, 16, v100
	v_lshrrev_b32_e32 v24, 16, v98
	v_lshrrev_b32_e32 v28, 16, v93
	v_lshrrev_b32_e32 v31, 16, v89
	s_wait_dscnt 0x0
	v_lshrrev_b32_e32 v4, 16, v0
	s_delay_alu instid0(VALU_DEP_1) | instskip(NEXT) | instid1(VALU_DEP_1)
	v_mul_f16_e32 v2, v5, v4
	v_fmac_f16_e32 v2, v101, v0
	v_mul_f16_e32 v0, v5, v0
	s_delay_alu instid0(VALU_DEP_2) | instskip(NEXT) | instid1(VALU_DEP_2)
	v_cvt_f32_f16_e32 v2, v2
	v_fma_f16 v0, v101, v4, -v0
	s_delay_alu instid0(VALU_DEP_2) | instskip(NEXT) | instid1(VALU_DEP_2)
	v_cvt_f64_f32_e32 v[2:3], v2
	v_cvt_f32_f16_e32 v0, v0
	s_delay_alu instid0(VALU_DEP_1) | instskip(SKIP_1) | instid1(VALU_DEP_1)
	v_cvt_f64_f32_e32 v[4:5], v0
	v_lshrrev_b32_e32 v0, 16, v1
	v_mul_f16_e32 v6, v10, v0
	s_delay_alu instid0(VALU_DEP_1) | instskip(SKIP_1) | instid1(VALU_DEP_2)
	v_fmac_f16_e32 v6, v100, v1
	v_mul_f16_e32 v1, v10, v1
	v_cvt_f32_f16_e32 v6, v6
	s_delay_alu instid0(VALU_DEP_2) | instskip(NEXT) | instid1(VALU_DEP_1)
	v_fma_f16 v0, v100, v0, -v1
	v_cvt_f32_f16_e32 v0, v0
	s_wait_alu 0xfffe
	v_mul_f64_e32 v[2:3], s[8:9], v[2:3]
	v_mul_f64_e32 v[4:5], s[8:9], v[4:5]
	s_delay_alu instid0(VALU_DEP_2) | instskip(SKIP_2) | instid1(VALU_DEP_3)
	v_and_or_b32 v2, 0x1ff, v3, v2
	v_lshrrev_b32_e32 v7, 8, v3
	v_bfe_u32 v8, v3, 20, 11
	v_cmp_ne_u32_e64 s0, 0, v2
	v_and_or_b32 v4, 0x1ff, v5, v4
	v_bfe_u32 v16, v5, 20, 11
	s_delay_alu instid0(VALU_DEP_4) | instskip(SKIP_4) | instid1(VALU_DEP_3)
	v_add_nc_u32_e32 v18, 0xfffffc10, v8
	s_wait_alu 0xf1ff
	v_cndmask_b32_e64 v2, 0, 1, s0
	v_cmp_ne_u32_e64 s0, 0, v4
	v_lshrrev_b32_e32 v4, 8, v5
	v_and_or_b32 v11, 0xffe, v7, v2
	v_sub_nc_u32_e32 v2, 0x3f1, v8
	v_cvt_f64_f32_e32 v[6:7], v6
	s_delay_alu instid0(VALU_DEP_3) | instskip(NEXT) | instid1(VALU_DEP_3)
	v_or_b32_e32 v9, 0x1000, v11
	v_med3_i32 v2, v2, 0, 13
	v_lshl_or_b32 v17, v18, 12, v11
	s_delay_alu instid0(VALU_DEP_2) | instskip(NEXT) | instid1(VALU_DEP_1)
	v_lshrrev_b32_e32 v10, v2, v9
	v_lshlrev_b32_e32 v1, v2, v10
	s_wait_alu 0xf1ff
	v_cndmask_b32_e64 v2, 0, 1, s0
	s_delay_alu instid0(VALU_DEP_2) | instskip(NEXT) | instid1(VALU_DEP_2)
	v_cmp_ne_u32_e64 s0, v1, v9
	v_and_or_b32 v4, 0xffe, v4, v2
	v_sub_nc_u32_e32 v2, 0x3f1, v16
	v_cvt_f64_f32_e32 v[0:1], v0
	s_wait_alu 0xf1ff
	v_cndmask_b32_e64 v9, 0, 1, s0
	v_or_b32_e32 v19, 0x1000, v4
	v_med3_i32 v2, v2, 0, 13
	v_cmp_gt_i32_e64 s0, 1, v18
	s_delay_alu instid0(VALU_DEP_4) | instskip(SKIP_2) | instid1(VALU_DEP_2)
	v_or_b32_e32 v10, v10, v9
	v_mad_co_u64_u32 v[8:9], null, s6, v14, 0
	s_wait_alu 0xf1ff
	v_cndmask_b32_e64 v10, v17, v10, s0
	v_lshrrev_b32_e32 v17, v2, v19
	v_mul_f64_e32 v[6:7], s[8:9], v[6:7]
	s_delay_alu instid0(VALU_DEP_3) | instskip(NEXT) | instid1(VALU_DEP_3)
	v_and_b32_e32 v20, 7, v10
	v_dual_mov_b32 v2, v9 :: v_dual_lshlrev_b32 v21, v2, v17
	s_delay_alu instid0(VALU_DEP_2) | instskip(NEXT) | instid1(VALU_DEP_2)
	v_cmp_lt_i32_e64 s0, 5, v20
	v_cmp_ne_u32_e64 s1, v21, v19
	v_add_nc_u32_e32 v21, 0xfffffc10, v16
	v_lshrrev_b32_e32 v16, 2, v10
	ds_load_2addr_b32 v[9:10], v65 offset0:42 offset1:63
	s_wait_alu 0xf1ff
	v_cndmask_b32_e64 v19, 0, 1, s1
	v_cmp_eq_u32_e64 s1, 3, v20
	s_delay_alu instid0(VALU_DEP_2) | instskip(NEXT) | instid1(VALU_DEP_2)
	v_or_b32_e32 v17, v17, v19
	s_or_b32 s0, s1, s0
	v_lshl_or_b32 v19, v21, 12, v4
	s_wait_alu 0xfffe
	v_add_co_ci_u32_e64 v16, s0, 0, v16, s0
	v_cmp_ne_u32_e64 s0, 0, v11
	v_mul_f64_e32 v[0:1], s[8:9], v[0:1]
	s_wait_alu 0xf1ff
	s_delay_alu instid0(VALU_DEP_2) | instskip(SKIP_1) | instid1(VALU_DEP_2)
	v_cndmask_b32_e64 v11, 0, 1, s0
	v_cmp_gt_i32_e64 s0, 1, v21
	v_lshl_or_b32 v11, v11, 9, 0x7c00
	s_wait_alu 0xf1ff
	s_delay_alu instid0(VALU_DEP_2) | instskip(SKIP_1) | instid1(VALU_DEP_2)
	v_cndmask_b32_e64 v19, v19, v17, s0
	v_cmp_gt_i32_e64 s0, 31, v18
	v_and_b32_e32 v22, 7, v19
	s_wait_alu 0xf1ff
	s_delay_alu instid0(VALU_DEP_2)
	v_cndmask_b32_e64 v20, 0x7c00, v16, s0
	v_cmp_eq_u32_e64 s0, 0x40f, v18
	v_mad_co_u64_u32 v[16:17], null, s7, v14, v[2:3]
	v_cmp_eq_u32_e64 s1, 3, v22
	v_lshrrev_b32_e32 v2, 2, v19
	s_wait_alu 0xf1ff
	v_cndmask_b32_e64 v11, v20, v11, s0
	v_cmp_lt_i32_e64 s0, 5, v22
	s_wait_dscnt 0x0
	v_lshrrev_b32_e32 v14, 16, v9
	v_lshrrev_b32_e32 v17, 16, v3
	v_and_or_b32 v3, 0x1ff, v7, v6
	v_lshrrev_b32_e32 v18, 8, v7
	s_or_b32 s0, s1, s0
	v_mul_f16_e32 v6, v24, v14
	s_wait_alu 0xfffe
	v_add_co_ci_u32_e64 v2, s0, 0, v2, s0
	v_cmp_ne_u32_e64 s0, 0, v4
	v_bfe_u32 v19, v7, 20, 11
	v_fmac_f16_e32 v6, v98, v9
	v_mul_f16_e32 v9, v24, v9
	v_and_or_b32 v11, 0x8000, v17, v11
	s_wait_alu 0xf1ff
	v_cndmask_b32_e64 v4, 0, 1, s0
	v_cmp_ne_u32_e64 s0, 0, v3
	v_cvt_f32_f16_e32 v6, v6
	v_and_or_b32 v0, 0x1ff, v1, v0
	v_fma_f16 v9, v98, v14, -v9
	v_lshl_or_b32 v4, v4, 9, 0x7c00
	s_wait_alu 0xf1ff
	v_cndmask_b32_e64 v3, 0, 1, s0
	v_cmp_gt_i32_e64 s0, 31, v21
	v_lshrrev_b32_e32 v24, 8, v1
	v_cvt_f32_f16_e32 v9, v9
	v_bfe_u32 v25, v1, 20, 11
	v_and_or_b32 v22, 0xffe, v18, v3
	s_wait_alu 0xf1ff
	v_cndmask_b32_e64 v20, 0x7c00, v2, s0
	v_cvt_f64_f32_e32 v[2:3], v6
	v_sub_nc_u32_e32 v18, 0x3f1, v19
	v_cmp_eq_u32_e64 s0, 0x40f, v21
	v_or_b32_e32 v6, 0x1000, v22
	v_lshrrev_b32_e32 v21, 16, v5
	v_add_nc_u32_e32 v26, 0xfffffc10, v19
	v_med3_i32 v17, v18, 0, 13
	s_wait_alu 0xf1ff
	v_cndmask_b32_e64 v20, v20, v4, s0
	v_cmp_ne_u32_e64 s0, 0, v0
	v_mad_co_u64_u32 v[4:5], null, s4, v96, 0
	v_lshrrev_b32_e32 v23, v17, v6
	s_delay_alu instid0(VALU_DEP_4)
	v_and_or_b32 v21, 0x8000, v21, v20
	s_wait_alu 0xf1ff
	v_cndmask_b32_e64 v18, 0, 1, s0
	v_and_b32_e32 v11, 0xffff, v11
	v_lshrrev_b32_e32 v7, 16, v7
	v_lshlrev_b32_e32 v14, v17, v23
	v_mov_b32_e32 v0, v5
	v_and_or_b32 v24, 0xffe, v24, v18
	v_cvt_f64_f32_e32 v[17:18], v9
	v_sub_nc_u32_e32 v5, 0x3f1, v25
	v_cmp_ne_u32_e64 s0, v14, v6
	v_lshl_or_b32 v21, v21, 16, v11
	v_or_b32_e32 v27, 0x1000, v24
	s_delay_alu instid0(VALU_DEP_4)
	v_med3_i32 v9, v5, 0, 13
	s_wait_alu 0xf1ff
	v_cndmask_b32_e64 v14, 0, 1, s0
	v_mad_co_u64_u32 v[5:6], null, s5, v96, v[0:1]
	v_lshl_or_b32 v6, v26, 12, v22
	v_cmp_gt_i32_e64 s0, 1, v26
	s_delay_alu instid0(VALU_DEP_4)
	v_or_b32_e32 v0, v23, v14
	v_lshrrev_b32_e32 v14, v9, v27
	v_add_nc_u32_e32 v23, 0xfffffc10, v25
	v_lshrrev_b32_e32 v25, 16, v95
	s_wait_alu 0xf1ff
	v_cndmask_b32_e64 v0, v6, v0, s0
	v_dual_mov_b32 v9, v16 :: v_dual_lshlrev_b32 v6, v9, v14
	v_mul_f64_e32 v[19:20], s[8:9], v[2:3]
	s_delay_alu instid0(VALU_DEP_3) | instskip(NEXT) | instid1(VALU_DEP_3)
	v_and_b32_e32 v11, 7, v0
	v_cmp_ne_u32_e64 s0, v6, v27
	s_delay_alu instid0(VALU_DEP_4)
	v_lshlrev_b64_e32 v[2:3], 2, v[8:9]
	v_lshrrev_b32_e32 v0, 2, v0
	v_lshl_or_b32 v8, v23, 12, v24
	v_cmp_eq_u32_e64 s1, 3, v11
	s_wait_alu 0xf1ff
	v_cndmask_b32_e64 v6, 0, 1, s0
	v_cmp_lt_i32_e64 s0, 5, v11
	v_add_co_u32 v2, s2, s10, v2
	s_wait_alu 0xf1ff
	v_add_co_ci_u32_e64 v3, s2, s11, v3, s2
	v_or_b32_e32 v6, v14, v6
	v_cmp_gt_i32_e64 s2, 1, v23
	s_or_b32 s0, s1, s0
	s_wait_alu 0xfffe
	v_add_co_ci_u32_e64 v0, s0, 0, v0, s0
	v_cmp_ne_u32_e64 s0, 0, v22
	v_cndmask_b32_e64 v6, v8, v6, s2
	v_mul_f64_e32 v[8:9], s[8:9], v[17:18]
	v_lshrrev_b32_e32 v18, 16, v10
	v_cmp_eq_u32_e64 s2, 0x40f, v26
	s_wait_alu 0xf1ff
	v_cndmask_b32_e64 v11, 0, 1, s0
	v_cmp_gt_i32_e64 s0, 31, v26
	v_and_b32_e32 v14, 7, v6
	v_mul_f16_e32 v16, v25, v18
	v_lshrrev_b32_e32 v6, 2, v6
	v_lshl_or_b32 v11, v11, 9, 0x7c00
	s_wait_alu 0xf1ff
	v_cndmask_b32_e64 v0, 0x7c00, v0, s0
	v_cmp_lt_i32_e64 s0, 5, v14
	v_cmp_eq_u32_e64 s1, 3, v14
	v_fmac_f16_e32 v16, v95, v10
	s_delay_alu instid0(VALU_DEP_4) | instskip(SKIP_1) | instid1(VALU_DEP_4)
	v_cndmask_b32_e64 v0, v0, v11, s2
	v_and_or_b32 v11, 0x1ff, v20, v19
	s_or_b32 s0, s1, s0
	s_delay_alu instid0(VALU_DEP_3)
	v_cvt_f32_f16_e32 v14, v16
	s_wait_alu 0xfffe
	v_add_co_ci_u32_e64 v6, s0, 0, v6, s0
	v_cmp_ne_u32_e64 s0, 0, v11
	v_lshrrev_b32_e32 v19, 8, v20
	v_bfe_u32 v22, v20, 20, 11
	v_cvt_f64_f32_e32 v[16:17], v14
	v_and_or_b32 v7, 0x8000, v7, v0
	s_wait_alu 0xf1ff
	v_cndmask_b32_e64 v11, 0, 1, s0
	v_cmp_ne_u32_e64 s0, 0, v24
	s_delay_alu instid0(VALU_DEP_2) | instskip(SKIP_1) | instid1(VALU_DEP_2)
	v_and_or_b32 v19, 0xffe, v19, v11
	s_wait_alu 0xf1ff
	v_cndmask_b32_e64 v14, 0, 1, s0
	v_sub_nc_u32_e32 v11, 0x3f1, v22
	v_cmp_gt_i32_e64 s0, 31, v23
	v_add_nc_u32_e32 v22, 0xfffffc10, v22
	v_or_b32_e32 v24, 0x1000, v19
	v_lshl_or_b32 v14, v14, 9, 0x7c00
	v_med3_i32 v11, v11, 0, 13
	s_wait_alu 0xf1ff
	v_cndmask_b32_e64 v6, 0x7c00, v6, s0
	v_cmp_eq_u32_e64 s0, 0x40f, v23
	s_wait_alu 0xf1ff
	s_delay_alu instid0(VALU_DEP_1) | instskip(SKIP_4) | instid1(VALU_DEP_4)
	v_cndmask_b32_e64 v6, v6, v14, s0
	v_lshrrev_b32_e32 v14, 16, v1
	v_lshlrev_b64_e32 v[0:1], 2, v[4:5]
	v_lshrrev_b32_e32 v4, v11, v24
	v_and_or_b32 v5, 0x1ff, v9, v8
	v_and_or_b32 v8, 0x8000, v14, v6
	v_and_b32_e32 v14, 0xffff, v7
	v_mul_f16_e32 v6, v25, v10
	v_lshlrev_b32_e32 v7, v11, v4
	v_cmp_ne_u32_e64 s0, 0, v5
	v_lshrrev_b32_e32 v10, 8, v9
	v_lshl_or_b32 v25, v22, 12, v19
	v_fma_f16 v6, v95, v18, -v6
	v_bfe_u32 v18, v9, 20, 11
	s_wait_alu 0xf1ff
	v_cndmask_b32_e64 v5, 0, 1, s0
	v_cmp_ne_u32_e64 s0, v7, v24
	v_lshl_or_b32 v14, v8, 16, v14
	v_cvt_f32_f16_e32 v6, v6
	s_delay_alu instid0(VALU_DEP_4)
	v_and_or_b32 v23, 0xffe, v10, v5
	s_wait_alu 0xf1ff
	v_cndmask_b32_e64 v7, 0, 1, s0
	v_sub_nc_u32_e32 v10, 0x3f1, v18
	v_cmp_gt_i32_e64 s0, 1, v22
	v_add_nc_u32_e32 v18, 0xfffffc10, v18
	v_or_b32_e32 v26, 0x1000, v23
	v_or_b32_e32 v24, v4, v7
	v_cvt_f64_f32_e32 v[4:5], v6
	v_med3_i32 v27, v10, 0, 13
	ds_load_2addr_b32 v[6:7], v65 offset0:84 offset1:105
	v_mul_f64_e32 v[10:11], s[8:9], v[16:17]
	s_wait_alu 0xf1ff
	v_cndmask_b32_e64 v16, v25, v24, s0
	v_add_co_u32 v0, s0, v2, v0
	v_lshrrev_b32_e32 v17, v27, v26
	s_wait_alu 0xf1ff
	v_add_co_ci_u32_e64 v1, s0, v3, v1, s0
	v_and_b32_e32 v24, 7, v16
	s_mul_u64 s[0:1], s[4:5], 21
	v_lshlrev_b32_e32 v8, v27, v17
	s_wait_alu 0xfffe
	s_lshl_b64 s[6:7], s[0:1], 2
	v_lshrrev_b32_e32 v16, 2, v16
	v_cmp_lt_i32_e64 s0, 5, v24
	v_cmp_eq_u32_e64 s1, 3, v24
	v_cmp_ne_u32_e64 s2, v8, v26
	s_delay_alu instid0(VALU_DEP_2) | instskip(NEXT) | instid1(VALU_DEP_1)
	s_or_b32 s0, s1, s0
	v_cndmask_b32_e64 v8, 0, 1, s2
	s_wait_alu 0xfffe
	v_add_co_ci_u32_e64 v16, s0, 0, v16, s0
	s_wait_dscnt 0x0
	v_lshrrev_b32_e32 v24, 16, v6
	v_cmp_ne_u32_e64 s0, 0, v19
	v_or_b32_e32 v8, v17, v8
	v_lshl_or_b32 v17, v18, 12, v23
	s_delay_alu instid0(VALU_DEP_4) | instskip(SKIP_3) | instid1(VALU_DEP_3)
	v_mul_f16_e32 v25, v28, v24
	s_wait_alu 0xf1ff
	v_cndmask_b32_e64 v19, 0, 1, s0
	v_cmp_gt_i32_e64 s0, 1, v18
	v_fmac_f16_e32 v25, v93, v6
	v_mul_f16_e32 v6, v28, v6
	s_wait_alu 0xf1ff
	s_delay_alu instid0(VALU_DEP_3)
	v_cndmask_b32_e64 v8, v17, v8, s0
	v_cmp_gt_i32_e64 s0, 31, v22
	v_lshl_or_b32 v17, v19, 9, 0x7c00
	v_mul_f64_e32 v[4:5], s[8:9], v[4:5]
	v_cvt_f32_f16_e32 v19, v25
	v_and_b32_e32 v25, 7, v8
	s_wait_alu 0xf1ff
	v_cndmask_b32_e64 v16, 0x7c00, v16, s0
	v_cmp_eq_u32_e64 s0, 0x40f, v22
	v_and_or_b32 v10, 0x1ff, v11, v10
	v_lshrrev_b32_e32 v8, 2, v8
	v_cmp_eq_u32_e64 s1, 3, v25
	v_fma_f16 v6, v93, v24, -v6
	s_wait_alu 0xf1ff
	v_cndmask_b32_e64 v22, v16, v17, s0
	v_cmp_lt_i32_e64 s0, 5, v25
	v_cvt_f64_f32_e32 v[16:17], v19
	v_cmp_ne_u32_e64 s2, 0, v10
	v_lshrrev_b32_e32 v19, 16, v20
	v_lshrrev_b32_e32 v20, 8, v11
	s_or_b32 s0, s1, s0
	v_bfe_u32 v25, v11, 20, 11
	s_wait_alu 0xfffe
	v_add_co_ci_u32_e64 v8, s0, 0, v8, s0
	v_cndmask_b32_e64 v10, 0, 1, s2
	v_cmp_ne_u32_e64 s0, 0, v23
	v_and_or_b32 v19, 0x8000, v19, v22
	v_lshrrev_b32_e32 v22, 16, v9
	v_cvt_f32_f16_e32 v6, v6
	v_and_or_b32 v10, 0xffe, v20, v10
	s_wait_alu 0xf1ff
	v_cndmask_b32_e64 v23, 0, 1, s0
	v_sub_nc_u32_e32 v20, 0x3f1, v25
	v_cmp_gt_i32_e64 s0, 31, v18
	v_and_b32_e32 v27, 0xffff, v19
	v_or_b32_e32 v26, 0x1000, v10
	v_lshl_or_b32 v23, v23, 9, 0x7c00
	v_med3_i32 v20, v20, 0, 13
	s_wait_alu 0xf1ff
	v_cndmask_b32_e64 v8, 0x7c00, v8, s0
	v_cmp_eq_u32_e64 s0, 0x40f, v18
	v_lshrrev_b32_e32 v11, 16, v11
	s_wait_alu 0xf1ff
	s_delay_alu instid0(VALU_DEP_2) | instskip(SKIP_4) | instid1(VALU_DEP_3)
	v_cndmask_b32_e64 v18, v8, v23, s0
	v_lshrrev_b32_e32 v23, v20, v26
	v_add_co_u32 v8, s0, v0, s6
	s_wait_alu 0xf1ff
	v_add_co_ci_u32_e64 v9, s0, s7, v1, s0
	v_lshlrev_b32_e32 v20, v20, v23
	v_and_or_b32 v4, 0x1ff, v5, v4
	v_and_or_b32 v22, 0x8000, v22, v18
	v_lshrrev_b32_e32 v19, 8, v5
	v_bfe_u32 v24, v5, 20, 11
	v_cmp_ne_u32_e64 s0, v20, v26
	v_mul_f64_e32 v[16:17], s[8:9], v[16:17]
	v_add_nc_u32_e32 v20, 0xfffffc10, v25
	s_clause 0x1
	global_store_b32 v[0:1], v21, off
	global_store_b32 v[8:9], v14, off
	v_sub_nc_u32_e32 v26, 0x3f1, v24
	s_wait_alu 0xf1ff
	v_cndmask_b32_e64 v18, 0, 1, s0
	v_cmp_ne_u32_e64 s0, 0, v4
	v_lshl_or_b32 v25, v20, 12, v10
	v_lshl_or_b32 v14, v22, 16, v27
	v_lshrrev_b32_e32 v27, 16, v91
	v_or_b32_e32 v23, v23, v18
	s_wait_alu 0xf1ff
	v_cndmask_b32_e64 v4, 0, 1, s0
	v_cmp_gt_i32_e64 s0, 1, v20
	s_delay_alu instid0(VALU_DEP_2) | instskip(SKIP_2) | instid1(VALU_DEP_3)
	v_and_or_b32 v4, 0xffe, v19, v4
	v_cvt_f64_f32_e32 v[18:19], v6
	s_wait_alu 0xf1ff
	v_cndmask_b32_e64 v6, v25, v23, s0
	v_med3_i32 v25, v26, 0, 13
	v_add_co_u32 v0, s0, v8, s6
	v_or_b32_e32 v23, 0x1000, v4
	s_delay_alu instid0(VALU_DEP_4)
	v_and_b32_e32 v21, 7, v6
	s_wait_alu 0xf1ff
	v_add_co_ci_u32_e64 v1, s0, s7, v9, s0
	v_lshrrev_b32_e32 v6, 2, v6
	v_lshrrev_b32_e32 v22, v25, v23
	v_cmp_lt_i32_e64 s0, 5, v21
	v_cmp_eq_u32_e64 s1, 3, v21
	v_lshrrev_b32_e32 v21, 16, v7
	s_delay_alu instid0(VALU_DEP_4) | instskip(NEXT) | instid1(VALU_DEP_3)
	v_lshlrev_b32_e32 v8, v25, v22
	s_or_b32 s0, s1, s0
	s_delay_alu instid0(VALU_DEP_2)
	v_mul_f16_e32 v9, v27, v21
	s_wait_alu 0xfffe
	v_add_co_ci_u32_e64 v6, s0, 0, v6, s0
	v_cmp_ne_u32_e64 s2, v8, v23
	v_add_nc_u32_e32 v23, 0xfffffc10, v24
	v_cmp_ne_u32_e64 s0, 0, v10
	v_fmac_f16_e32 v9, v91, v7
	v_and_or_b32 v16, 0x1ff, v17, v16
	s_wait_alu 0xf1ff
	v_cndmask_b32_e64 v8, 0, 1, s2
	v_lshrrev_b32_e32 v25, 8, v17
	v_cndmask_b32_e64 v10, 0, 1, s0
	v_cmp_gt_i32_e64 s0, 1, v23
	v_cvt_f32_f16_e32 v24, v9
	v_or_b32_e32 v8, v22, v8
	v_lshl_or_b32 v22, v23, 12, v4
	v_bfe_u32 v26, v17, 20, 11
	v_lshl_or_b32 v10, v10, 9, 0x7c00
	v_cmp_eq_u32_e64 s2, 0x40f, v20
	v_mul_f16_e32 v7, v27, v7
	s_wait_alu 0xf1ff
	v_cndmask_b32_e64 v22, v22, v8, s0
	v_cmp_ne_u32_e64 s0, 0, v16
	v_mul_f64_e32 v[8:9], s[8:9], v[18:19]
	v_cvt_f64_f32_e32 v[18:19], v24
	v_fma_f16 v7, v91, v21, -v7
	v_and_b32_e32 v24, 7, v22
	s_wait_alu 0xf1ff
	v_cndmask_b32_e64 v16, 0, 1, s0
	v_cmp_gt_i32_e64 s0, 31, v20
	v_lshrrev_b32_e32 v17, 16, v17
	v_cvt_f32_f16_e32 v7, v7
	v_cmp_eq_u32_e64 s1, 3, v24
	v_and_or_b32 v16, 0xffe, v25, v16
	s_wait_alu 0xf1ff
	v_cndmask_b32_e64 v6, 0x7c00, v6, s0
	v_sub_nc_u32_e32 v25, 0x3f1, v26
	v_cmp_lt_i32_e64 s0, 5, v24
	v_or_b32_e32 v24, 0x1000, v16
	s_delay_alu instid0(VALU_DEP_4) | instskip(SKIP_4) | instid1(VALU_DEP_2)
	v_cndmask_b32_e64 v10, v6, v10, s2
	v_lshrrev_b32_e32 v6, 2, v22
	v_med3_i32 v25, v25, 0, 13
	s_or_b32 s0, s1, s0
	s_wait_alu 0xfffe
	v_add_co_ci_u32_e64 v21, s0, 0, v6, s0
	s_delay_alu instid0(VALU_DEP_2) | instskip(SKIP_2) | instid1(VALU_DEP_3)
	v_lshrrev_b32_e32 v20, v25, v24
	v_cmp_ne_u32_e64 s0, 0, v4
	v_cvt_f64_f32_e32 v[6:7], v7
	v_lshlrev_b32_e32 v22, v25, v20
	s_wait_alu 0xf1ff
	s_delay_alu instid0(VALU_DEP_3) | instskip(SKIP_2) | instid1(VALU_DEP_3)
	v_cndmask_b32_e64 v4, 0, 1, s0
	v_cmp_gt_i32_e64 s0, 31, v23
	v_and_or_b32 v25, 0x8000, v11, v10
	v_lshl_or_b32 v4, v4, 9, 0x7c00
	s_wait_alu 0xf1ff
	s_delay_alu instid0(VALU_DEP_3) | instskip(SKIP_4) | instid1(VALU_DEP_3)
	v_cndmask_b32_e64 v21, 0x7c00, v21, s0
	v_cmp_ne_u32_e64 s0, v22, v24
	v_add_nc_u32_e32 v24, 0xfffffc10, v26
	v_and_or_b32 v8, 0x1ff, v9, v8
	s_wait_alu 0xf1ff
	v_cndmask_b32_e64 v22, 0, 1, s0
	v_cmp_eq_u32_e64 s0, 0x40f, v23
	v_lshl_or_b32 v11, v24, 12, v16
	s_delay_alu instid0(VALU_DEP_3) | instskip(SKIP_1) | instid1(VALU_DEP_3)
	v_or_b32_e32 v10, v20, v22
	s_wait_alu 0xf1ff
	v_cndmask_b32_e64 v21, v21, v4, s0
	v_lshrrev_b32_e32 v20, 16, v5
	v_mul_f64_e32 v[4:5], s[8:9], v[18:19]
	v_cmp_gt_i32_e64 s0, 1, v24
	v_lshrrev_b32_e32 v19, 8, v9
	v_bfe_u32 v22, v9, 20, 11
	v_and_or_b32 v20, 0x8000, v20, v21
	v_and_b32_e32 v21, 0xffff, v25
	s_wait_alu 0xf1ff
	v_cndmask_b32_e64 v18, v11, v10, s0
	v_cmp_ne_u32_e64 s0, 0, v8
	ds_load_2addr_b32 v[10:11], v65 offset0:126 offset1:147
	v_lshrrev_b32_e32 v9, 16, v9
	v_lshl_or_b32 v26, v20, 16, v21
	v_and_b32_e32 v23, 7, v18
	s_wait_alu 0xf1ff
	v_cndmask_b32_e64 v8, 0, 1, s0
	v_lshrrev_b32_e32 v18, 2, v18
	v_mul_f64_e32 v[6:7], s[8:9], v[6:7]
	v_cmp_lt_i32_e64 s0, 5, v23
	v_cmp_eq_u32_e64 s1, 3, v23
	v_and_or_b32 v8, 0xffe, v19, v8
	v_sub_nc_u32_e32 v19, 0x3f1, v22
	v_add_nc_u32_e32 v22, 0xfffffc10, v22
	s_delay_alu instid0(VALU_DEP_4) | instskip(NEXT) | instid1(VALU_DEP_3)
	s_or_b32 s0, s1, s0
	v_or_b32_e32 v23, 0x1000, v8
	s_delay_alu instid0(VALU_DEP_3)
	v_med3_i32 v25, v19, 0, 13
	s_wait_alu 0xfffe
	v_add_co_ci_u32_e64 v20, s0, 0, v18, s0
	v_add_co_u32 v18, s0, v0, s6
	s_wait_alu 0xf1ff
	v_add_co_ci_u32_e64 v19, s0, s7, v1, s0
	v_lshrrev_b32_e32 v21, v25, v23
	v_cmp_gt_i32_e64 s0, 31, v24
	s_wait_dscnt 0x0
	v_lshrrev_b32_e32 v27, 16, v10
	s_clause 0x1
	global_store_b32 v[0:1], v14, off
	global_store_b32 v[18:19], v26, off
	scratch_load_b32 v32, off, off offset:48 th:TH_LOAD_LU ; 4-byte Folded Reload
	v_lshlrev_b32_e32 v25, v25, v21
	s_wait_alu 0xf1ff
	v_cndmask_b32_e64 v28, 0x7c00, v20, s0
	v_cmp_ne_u32_e64 s0, 0, v16
	v_mul_f16_e32 v20, v31, v27
	v_and_or_b32 v4, 0x1ff, v5, v4
	v_lshrrev_b32_e32 v29, 8, v5
	v_bfe_u32 v30, v5, 20, 11
	s_wait_alu 0xf1ff
	v_cndmask_b32_e64 v16, 0, 1, s0
	v_cmp_ne_u32_e64 s0, v25, v23
	v_fmac_f16_e32 v20, v89, v10
	v_lshl_or_b32 v25, v22, 12, v8
	v_mul_f16_e32 v10, v31, v10
	v_lshl_or_b32 v16, v16, 9, 0x7c00
	s_wait_alu 0xf1ff
	v_cndmask_b32_e64 v23, 0, 1, s0
	v_cmp_ne_u32_e64 s0, 0, v4
	v_cvt_f32_f16_e32 v20, v20
	v_and_or_b32 v0, 0x1ff, v7, v6
	v_fma_f16 v10, v89, v27, -v10
	v_or_b32_e32 v23, v21, v23
	s_wait_alu 0xf1ff
	v_cndmask_b32_e64 v4, 0, 1, s0
	v_cmp_gt_i32_e64 s0, 1, v22
	v_cvt_f64_f32_e32 v[20:21], v20
	v_cmp_ne_u32_e64 s2, 0, v0
	scratch_load_b32 v31, off, off offset:36 th:TH_LOAD_LU ; 4-byte Folded Reload
	v_and_or_b32 v4, 0xffe, v29, v4
	s_wait_alu 0xf1ff
	v_cndmask_b32_e64 v23, v25, v23, s0
	v_sub_nc_u32_e32 v25, 0x3f1, v30
	v_cmp_eq_u32_e64 s0, 0x40f, v24
	v_cndmask_b32_e64 v0, 0, 1, s2
	v_or_b32_e32 v24, 0x1000, v4
	v_lshrrev_b32_e32 v1, 2, v23
	v_med3_i32 v25, v25, 0, 13
	s_wait_alu 0xf1ff
	v_cndmask_b32_e64 v16, v28, v16, s0
	v_and_b32_e32 v28, 7, v23
	v_bfe_u32 v23, v7, 20, 11
	scratch_load_b32 v29, off, off offset:52 th:TH_LOAD_LU ; 4-byte Folded Reload
	v_lshrrev_b32_e32 v26, v25, v24
	v_and_or_b32 v14, 0x8000, v17, v16
	v_cmp_lt_i32_e64 s0, 5, v28
	v_cmp_eq_u32_e64 s1, 3, v28
	v_lshrrev_b32_e32 v16, 8, v7
	v_lshlrev_b32_e32 v6, v25, v26
	v_lshrrev_b32_e32 v5, 16, v5
	v_lshrrev_b32_e32 v7, 16, v7
	s_or_b32 s0, s1, s0
	v_and_or_b32 v27, 0xffe, v16, v0
	s_wait_alu 0xfffe
	v_add_co_ci_u32_e64 v25, s0, 0, v1, s0
	v_cmp_ne_u32_e64 s0, v6, v24
	v_sub_nc_u32_e32 v16, 0x3f1, v23
	v_cvt_f32_f16_e32 v0, v10
	v_add_nc_u32_e32 v10, 0xfffffc10, v30
	v_or_b32_e32 v24, 0x1000, v27
	s_wait_alu 0xf1ff
	v_cndmask_b32_e64 v6, 0, 1, s0
	v_cmp_ne_u32_e64 s0, 0, v8
	v_med3_i32 v28, v16, 0, 13
	v_cvt_f64_f32_e32 v[0:1], v0
	v_add_nc_u32_e32 v23, 0xfffffc10, v23
	v_or_b32_e32 v6, v26, v6
	s_wait_alu 0xf1ff
	v_cndmask_b32_e64 v8, 0, 1, s0
	v_cmp_gt_i32_e64 s0, 31, v22
	v_mul_f64_e32 v[16:17], s[8:9], v[20:21]
	v_lshl_or_b32 v20, v10, 12, v4
	v_lshrrev_b32_e32 v21, v28, v24
	v_lshl_or_b32 v8, v8, 9, 0x7c00
	s_wait_alu 0xf1ff
	v_cndmask_b32_e64 v25, 0x7c00, v25, s0
	v_cmp_gt_i32_e64 s0, 1, v10
	v_cmp_gt_i32_e64 s2, 1, v23
	s_wait_alu 0xf1ff
	s_delay_alu instid0(VALU_DEP_2)
	v_cndmask_b32_e64 v6, v20, v6, s0
	v_lshlrev_b32_e32 v20, v28, v21
	scratch_load_b32 v28, off, off offset:44 th:TH_LOAD_LU ; 4-byte Folded Reload
	v_cmp_eq_u32_e64 s0, 0x40f, v22
	v_and_b32_e32 v22, 7, v6
	v_lshrrev_b32_e32 v6, 2, v6
	s_wait_alu 0xf1ff
	s_delay_alu instid0(VALU_DEP_3) | instskip(SKIP_2) | instid1(VALU_DEP_3)
	v_cndmask_b32_e64 v8, v25, v8, s0
	v_cmp_ne_u32_e64 s0, v20, v24
	v_cmp_eq_u32_e64 s1, 3, v22
	v_and_or_b32 v8, 0x8000, v9, v8
	s_wait_alu 0xf1ff
	s_delay_alu instid0(VALU_DEP_3) | instskip(SKIP_2) | instid1(VALU_DEP_3)
	v_cndmask_b32_e64 v20, 0, 1, s0
	v_cmp_lt_i32_e64 s0, 5, v22
	v_and_b32_e32 v9, 0xffff, v14
	v_or_b32_e32 v14, v21, v20
	v_lshl_or_b32 v20, v23, 12, v27
	s_delay_alu instid0(VALU_DEP_4) | instskip(NEXT) | instid1(VALU_DEP_3)
	s_or_b32 s0, s1, s0
	v_lshl_or_b32 v22, v8, 16, v9
	s_wait_alu 0xfffe
	v_add_co_ci_u32_e64 v6, s0, 0, v6, s0
	v_cndmask_b32_e64 v8, v20, v14, s2
	v_lshrrev_b32_e32 v14, 16, v11
	v_cmp_ne_u32_e64 s0, 0, v4
	v_and_or_b32 v16, 0x1ff, v17, v16
	v_mul_f64_e32 v[0:1], s[8:9], v[0:1]
	v_and_b32_e32 v9, 7, v8
	v_lshrrev_b32_e32 v21, 8, v17
	s_wait_alu 0xf1ff
	v_cndmask_b32_e64 v4, 0, 1, s0
	v_cmp_gt_i32_e64 s0, 31, v10
	v_cmp_ne_u32_e64 s1, 0, v16
	v_lshrrev_b32_e32 v25, 2, v8
	v_bfe_u32 v24, v17, 20, 11
	v_lshl_or_b32 v4, v4, 9, 0x7c00
	s_wait_alu 0xf1ff
	v_cndmask_b32_e64 v6, 0x7c00, v6, s0
	v_cmp_lt_i32_e64 s0, 5, v9
	v_cndmask_b32_e64 v16, 0, 1, s1
	v_cmp_eq_u32_e64 s1, 3, v9
	v_lshrrev_b32_e32 v17, 16, v17
	s_delay_alu instid0(VALU_DEP_3) | instskip(NEXT) | instid1(VALU_DEP_3)
	v_and_or_b32 v16, 0xffe, v21, v16
	s_or_b32 s0, s1, s0
	s_wait_alu 0xfffe
	v_add_co_ci_u32_e64 v21, s0, 0, v25, s0
	v_cmp_ne_u32_e64 s0, 0, v27
	v_or_b32_e32 v26, 0x1000, v16
	s_wait_alu 0xf1ff
	s_delay_alu instid0(VALU_DEP_2) | instskip(SKIP_1) | instid1(VALU_DEP_2)
	v_cndmask_b32_e64 v25, 0, 1, s0
	v_cmp_gt_i32_e64 s0, 31, v23
	v_lshl_or_b32 v25, v25, 9, 0x7c00
	s_wait_alu 0xf1ff
	s_delay_alu instid0(VALU_DEP_2) | instskip(SKIP_2) | instid1(VALU_DEP_1)
	v_cndmask_b32_e64 v21, 0x7c00, v21, s0
	v_cmp_eq_u32_e64 s0, 0x40f, v10
	s_wait_alu 0xf1ff
	v_cndmask_b32_e64 v4, v6, v4, s0
	v_cmp_eq_u32_e64 s0, 0x40f, v23
	v_and_or_b32 v0, 0x1ff, v1, v0
	s_wait_alu 0xf1ff
	s_delay_alu instid0(VALU_DEP_2) | instskip(SKIP_1) | instid1(VALU_DEP_2)
	v_cndmask_b32_e64 v10, v21, v25, s0
	v_and_or_b32 v21, 0x8000, v5, v4
	v_and_or_b32 v23, 0x8000, v7, v10
	v_lshrrev_b32_e32 v7, 8, v1
	s_delay_alu instid0(VALU_DEP_3) | instskip(NEXT) | instid1(VALU_DEP_1)
	v_and_b32_e32 v21, 0xffff, v21
	v_lshl_or_b32 v23, v23, 16, v21
	s_wait_loadcnt 0x1
	v_mul_f16_e32 v20, v29, v14
	v_mul_f16_e32 v4, v29, v11
	s_wait_loadcnt 0x0
	s_delay_alu instid0(VALU_DEP_2) | instskip(NEXT) | instid1(VALU_DEP_2)
	v_fmac_f16_e32 v20, v28, v11
	v_fma_f16 v4, v28, v14, -v4
	v_bfe_u32 v14, v1, 20, 11
	s_delay_alu instid0(VALU_DEP_3) | instskip(NEXT) | instid1(VALU_DEP_3)
	v_cvt_f32_f16_e32 v20, v20
	v_cvt_f32_f16_e32 v4, v4
	s_delay_alu instid0(VALU_DEP_3) | instskip(SKIP_1) | instid1(VALU_DEP_4)
	v_sub_nc_u32_e32 v11, 0x3f1, v14
	v_add_nc_u32_e32 v14, 0xfffffc10, v14
	v_cvt_f64_f32_e32 v[8:9], v20
	v_sub_nc_u32_e32 v20, 0x3f1, v24
	v_add_nc_u32_e32 v24, 0xfffffc10, v24
	s_delay_alu instid0(VALU_DEP_2) | instskip(NEXT) | instid1(VALU_DEP_1)
	v_med3_i32 v20, v20, 0, 13
	v_lshrrev_b32_e32 v6, v20, v26
	s_delay_alu instid0(VALU_DEP_1) | instskip(NEXT) | instid1(VALU_DEP_1)
	v_lshlrev_b32_e32 v20, v20, v6
	v_cmp_ne_u32_e64 s0, v20, v26
	v_lshl_or_b32 v20, v24, 12, v16
	v_med3_i32 v26, v11, 0, 13
	s_wait_alu 0xf1ff
	s_delay_alu instid0(VALU_DEP_3) | instskip(SKIP_1) | instid1(VALU_DEP_2)
	v_cndmask_b32_e64 v5, 0, 1, s0
	v_cmp_ne_u32_e64 s0, 0, v0
	v_or_b32_e32 v10, v6, v5
	s_wait_alu 0xf1ff
	s_delay_alu instid0(VALU_DEP_2) | instskip(SKIP_2) | instid1(VALU_DEP_3)
	v_cndmask_b32_e64 v0, 0, 1, s0
	v_cvt_f64_f32_e32 v[4:5], v4
	v_cmp_gt_i32_e64 s0, 1, v24
	v_and_or_b32 v0, 0xffe, v7, v0
	v_mul_f64_e32 v[6:7], s[8:9], v[8:9]
	ds_load_2addr_b32 v[8:9], v65 offset0:168 offset1:189
	s_wait_alu 0xf1ff
	v_cndmask_b32_e64 v20, v20, v10, s0
	v_add_co_u32 v10, s0, v18, s6
	v_or_b32_e32 v25, 0x1000, v0
	s_wait_alu 0xf1ff
	v_add_co_ci_u32_e64 v11, s0, s7, v19, s0
	v_and_b32_e32 v21, 7, v20
	v_add_co_u32 v18, s0, v10, s6
	v_lshrrev_b32_e32 v27, v26, v25
	s_wait_alu 0xf1ff
	v_add_co_ci_u32_e64 v19, s0, s7, v11, s0
	v_cmp_lt_i32_e64 s0, 5, v21
	v_cmp_eq_u32_e64 s1, 3, v21
	v_lshlrev_b32_e32 v26, v26, v27
	v_lshrrev_b32_e32 v20, 2, v20
	global_store_b32 v[10:11], v22, off
	global_store_b32 v[18:19], v23, off
	s_or_b32 s0, s1, s0
	v_cmp_ne_u32_e64 s2, v26, v25
	s_wait_alu 0xfffe
	v_add_co_ci_u32_e64 v20, s0, 0, v20, s0
	s_wait_dscnt 0x0
	v_lshrrev_b32_e32 v25, 16, v8
	v_cmp_ne_u32_e64 s0, 0, v16
	s_wait_alu 0xf1ff
	v_cndmask_b32_e64 v21, 0, 1, s2
	s_delay_alu instid0(VALU_DEP_3) | instskip(NEXT) | instid1(VALU_DEP_3)
	v_mul_f16_e32 v26, v32, v25
	v_cndmask_b32_e64 v16, 0, 1, s0
	s_delay_alu instid0(VALU_DEP_3)
	v_or_b32_e32 v21, v27, v21
	v_lshl_or_b32 v27, v14, 12, v0
	v_cmp_gt_i32_e64 s0, 1, v14
	v_fmac_f16_e32 v26, v31, v8
	v_mul_f64_e32 v[4:5], s[8:9], v[4:5]
	v_lshl_or_b32 v16, v16, 9, 0x7c00
	v_mul_f16_e32 v8, v32, v8
	s_wait_alu 0xf1ff
	v_cndmask_b32_e64 v27, v27, v21, s0
	v_and_or_b32 v6, 0x1ff, v7, v6
	v_cmp_gt_i32_e64 s0, 31, v24
	v_cvt_f32_f16_e32 v21, v26
	v_lshrrev_b32_e32 v29, 8, v7
	v_and_b32_e32 v28, 7, v27
	v_bfe_u32 v30, v7, 20, 11
	s_wait_alu 0xf1ff
	v_cndmask_b32_e64 v26, 0x7c00, v20, s0
	v_cmp_ne_u32_e64 s0, 0, v6
	v_cvt_f64_f32_e32 v[20:21], v21
	v_cmp_eq_u32_e64 s1, 3, v28
	v_fma_f16 v8, v31, v25, -v8
	scratch_load_b32 v31, off, off offset:24 th:TH_LOAD_LU ; 4-byte Folded Reload
	s_wait_alu 0xf1ff
	v_cndmask_b32_e64 v6, 0, 1, s0
	v_cmp_eq_u32_e64 s0, 0x40f, v24
	v_sub_nc_u32_e32 v24, 0x3f1, v30
	s_delay_alu instid0(VALU_DEP_3) | instskip(SKIP_1) | instid1(VALU_DEP_3)
	v_and_or_b32 v6, 0xffe, v29, v6
	s_wait_alu 0xf1ff
	v_cndmask_b32_e64 v16, v26, v16, s0
	v_cmp_lt_i32_e64 s0, 5, v28
	v_lshrrev_b32_e32 v26, 2, v27
	v_med3_i32 v24, v24, 0, 13
	v_or_b32_e32 v27, 0x1000, v6
	v_and_or_b32 v29, 0x8000, v17, v16
	s_or_b32 s0, s1, s0
	s_wait_alu 0xfffe
	v_add_co_ci_u32_e64 v26, s0, 0, v26, s0
	v_cmp_ne_u32_e64 s0, 0, v0
	v_lshrrev_b32_e32 v28, v24, v27
	s_wait_alu 0xf1ff
	s_delay_alu instid0(VALU_DEP_2) | instskip(SKIP_1) | instid1(VALU_DEP_3)
	v_cndmask_b32_e64 v0, 0, 1, s0
	v_cmp_gt_i32_e64 s0, 31, v14
	v_lshlrev_b32_e32 v16, v24, v28
	v_lshrrev_b32_e32 v24, 16, v1
	v_cvt_f32_f16_e32 v1, v8
	v_lshl_or_b32 v0, v0, 9, 0x7c00
	s_wait_alu 0xf1ff
	v_cndmask_b32_e64 v26, 0x7c00, v26, s0
	v_cmp_eq_u32_e64 s0, 0x40f, v14
	v_add_nc_u32_e32 v8, 0xfffffc10, v30
	scratch_load_b32 v30, off, off offset:12 th:TH_LOAD_LU ; 4-byte Folded Reload
	s_wait_alu 0xf1ff
	v_cndmask_b32_e64 v14, v26, v0, s0
	v_cmp_ne_u32_e64 s0, v16, v27
	v_and_or_b32 v0, 0x1ff, v5, v4
	v_and_b32_e32 v26, 0xffff, v29
	scratch_load_b32 v29, off, off offset:40 th:TH_LOAD_LU ; 4-byte Folded Reload
	v_mul_f64_e32 v[16:17], s[8:9], v[20:21]
	s_wait_alu 0xf1ff
	v_cndmask_b32_e64 v4, 0, 1, s0
	v_cmp_ne_u32_e64 s0, 0, v0
	v_cvt_f64_f32_e32 v[0:1], v1
	v_lshrrev_b32_e32 v20, 8, v5
	v_bfe_u32 v21, v5, 20, 11
	v_or_b32_e32 v4, v28, v4
	scratch_load_b32 v28, off, off offset:28 th:TH_LOAD_LU ; 4-byte Folded Reload
	s_wait_alu 0xf1ff
	v_cndmask_b32_e64 v25, 0, 1, s0
	v_and_or_b32 v14, 0x8000, v24, v14
	v_lshl_or_b32 v24, v8, 12, v6
	v_cmp_gt_i32_e64 s0, 1, v8
	v_lshrrev_b32_e32 v5, 16, v5
	v_and_or_b32 v20, 0xffe, v20, v25
	v_sub_nc_u32_e32 v25, 0x3f1, v21
	v_add_nc_u32_e32 v21, 0xfffffc10, v21
	s_wait_alu 0xf1ff
	v_cndmask_b32_e64 v4, v24, v4, s0
	v_add_co_u32 v10, s0, v18, s6
	v_or_b32_e32 v24, 0x1000, v20
	v_med3_i32 v25, v25, 0, 13
	s_delay_alu instid0(VALU_DEP_4)
	v_and_b32_e32 v22, 7, v4
	s_wait_alu 0xf1ff
	v_add_co_ci_u32_e64 v11, s0, s7, v19, s0
	v_lshrrev_b32_e32 v4, 2, v4
	v_lshrrev_b32_e32 v23, v25, v24
	v_cmp_lt_i32_e64 s0, 5, v22
	v_cmp_eq_u32_e64 s1, 3, v22
	v_lshrrev_b32_e32 v22, 16, v9
	v_lshl_or_b32 v14, v14, 16, v26
	v_lshlrev_b32_e32 v18, v25, v23
	s_delay_alu instid0(VALU_DEP_4) | instskip(SKIP_2) | instid1(VALU_DEP_2)
	s_or_b32 s0, s1, s0
	s_wait_alu 0xfffe
	v_add_co_ci_u32_e64 v4, s0, 0, v4, s0
	v_cmp_ne_u32_e64 s2, v18, v24
	v_cmp_ne_u32_e64 s0, 0, v6
	v_and_or_b32 v16, 0x1ff, v17, v16
	v_lshrrev_b32_e32 v24, 8, v17
	v_bfe_u32 v25, v17, 20, 11
	s_wait_alu 0xf1ff
	v_cndmask_b32_e64 v18, 0, 1, s2
	v_mul_f64_e32 v[0:1], s[8:9], v[0:1]
	v_cndmask_b32_e64 v6, 0, 1, s0
	v_cmp_gt_i32_e64 s0, 1, v21
	v_cmp_eq_u32_e64 s2, 0x40f, v8
	v_or_b32_e32 v18, v23, v18
	v_lshl_or_b32 v23, v21, 12, v20
	v_lshl_or_b32 v6, v6, 9, 0x7c00
	global_store_b32 v[10:11], v14, off
	v_lshrrev_b32_e32 v17, 16, v17
	s_wait_alu 0xf1ff
	v_cndmask_b32_e64 v23, v23, v18, s0
	v_cmp_ne_u32_e64 s0, 0, v16
	s_delay_alu instid0(VALU_DEP_2) | instskip(SKIP_1) | instid1(VALU_DEP_2)
	v_and_b32_e32 v26, 7, v23
	s_wait_alu 0xf1ff
	v_cndmask_b32_e64 v16, 0, 1, s0
	v_cmp_gt_i32_e64 s0, 31, v8
	s_delay_alu instid0(VALU_DEP_3) | instskip(NEXT) | instid1(VALU_DEP_3)
	v_cmp_eq_u32_e64 s1, 3, v26
	v_and_or_b32 v16, 0xffe, v24, v16
	s_wait_alu 0xf1ff
	s_delay_alu instid0(VALU_DEP_3)
	v_cndmask_b32_e64 v4, 0x7c00, v4, s0
	v_sub_nc_u32_e32 v24, 0x3f1, v25
	v_cmp_lt_i32_e64 s0, 5, v26
	v_add_nc_u32_e32 v25, 0xfffffc10, v25
	v_or_b32_e32 v26, 0x1000, v16
	v_cndmask_b32_e64 v4, v4, v6, s2
	v_lshrrev_b32_e32 v6, 2, v23
	v_med3_i32 v24, v24, 0, 13
	s_or_b32 s0, s1, s0
	v_lshrrev_b32_e32 v23, 16, v7
	s_wait_alu 0xfffe
	v_add_co_ci_u32_e64 v6, s0, 0, v6, s0
	v_lshrrev_b32_e32 v27, v24, v26
	v_cmp_ne_u32_e64 s0, 0, v20
	v_and_or_b32 v4, 0x8000, v23, v4
	v_and_or_b32 v0, 0x1ff, v1, v0
	s_wait_alu 0xf1ff
	s_delay_alu instid0(VALU_DEP_3) | instskip(SKIP_2) | instid1(VALU_DEP_1)
	v_cndmask_b32_e64 v7, 0, 1, s0
	v_cmp_gt_i32_e64 s0, 31, v21
	s_wait_alu 0xf1ff
	v_cndmask_b32_e64 v20, 0x7c00, v6, s0
	s_wait_loadcnt 0x1
	v_mul_f16_e32 v19, v29, v22
	v_mul_f16_e32 v8, v29, v9
	scratch_load_b32 v29, off, off offset:32 th:TH_LOAD_LU ; 4-byte Folded Reload
	s_wait_loadcnt 0x1
	v_fmac_f16_e32 v19, v28, v9
	v_lshlrev_b32_e32 v9, v24, v27
	v_fma_f16 v6, v28, v22, -v8
	v_bfe_u32 v28, v1, 20, 11
	v_lshl_or_b32 v24, v7, 9, 0x7c00
	v_cvt_f32_f16_e32 v19, v19
	v_cmp_ne_u32_e64 s0, v9, v26
	v_lshrrev_b32_e32 v26, 8, v1
	v_cvt_f32_f16_e32 v6, v6
	s_delay_alu instid0(VALU_DEP_4)
	v_cvt_f64_f32_e32 v[18:19], v19
	s_wait_alu 0xf1ff
	v_cndmask_b32_e64 v22, 0, 1, s0
	v_cmp_ne_u32_e64 s0, 0, v0
	v_cvt_f64_f32_e32 v[6:7], v6
	s_wait_alu 0xf1ff
	s_delay_alu instid0(VALU_DEP_2) | instskip(SKIP_1) | instid1(VALU_DEP_2)
	v_cndmask_b32_e64 v0, 0, 1, s0
	v_cmp_eq_u32_e64 s0, 0x40f, v21
	v_and_or_b32 v0, 0xffe, v26, v0
	s_wait_alu 0xf1ff
	s_delay_alu instid0(VALU_DEP_2) | instskip(SKIP_1) | instid1(VALU_DEP_3)
	v_cndmask_b32_e64 v20, v20, v24, s0
	v_cmp_gt_i32_e64 s0, 1, v25
	v_or_b32_e32 v21, 0x1000, v0
	s_delay_alu instid0(VALU_DEP_3) | instskip(SKIP_1) | instid1(VALU_DEP_1)
	v_and_or_b32 v14, 0x8000, v5, v20
	v_and_b32_e32 v20, 0xffff, v4
	v_lshl_or_b32 v14, v14, 16, v20
	v_mul_f64_e32 v[8:9], s[8:9], v[18:19]
	v_sub_nc_u32_e32 v19, 0x3f1, v28
	v_or_b32_e32 v18, v27, v22
	v_lshl_or_b32 v22, v25, 12, v16
	s_delay_alu instid0(VALU_DEP_3) | instskip(SKIP_1) | instid1(VALU_DEP_2)
	v_med3_i32 v24, v19, 0, 13
	s_wait_alu 0xf1ff
	v_cndmask_b32_e64 v22, v22, v18, s0
	ds_load_2addr_b32 v[18:19], v65 offset0:210 offset1:231
	v_lshrrev_b32_e32 v26, v24, v21
	v_and_b32_e32 v23, 7, v22
	v_lshrrev_b32_e32 v4, 2, v22
	s_delay_alu instid0(VALU_DEP_3) | instskip(NEXT) | instid1(VALU_DEP_3)
	v_lshlrev_b32_e32 v5, v24, v26
	v_cmp_lt_i32_e64 s0, 5, v23
	v_cmp_eq_u32_e64 s1, 3, v23
	s_delay_alu instid0(VALU_DEP_3)
	v_cmp_ne_u32_e64 s2, v5, v21
	v_add_nc_u32_e32 v21, 0xfffffc10, v28
	scratch_load_b32 v28, off, off offset:20 th:TH_LOAD_LU ; 4-byte Folded Reload
	s_or_b32 s0, s1, s0
	s_wait_alu 0xfffe
	v_add_co_ci_u32_e64 v22, s0, 0, v4, s0
	v_cndmask_b32_e64 v5, 0, 1, s2
	v_cmp_ne_u32_e64 s0, 0, v16
	s_wait_dscnt 0x0
	v_lshrrev_b32_e32 v23, 16, v18
	v_cmp_eq_u32_e64 s2, 0x40f, v25
	v_or_b32_e32 v4, v26, v5
	v_lshl_or_b32 v5, v21, 12, v0
	s_wait_alu 0xf1ff
	v_cndmask_b32_e64 v16, 0, 1, s0
	v_cmp_gt_i32_e64 s0, 1, v21
	v_bfe_u32 v27, v9, 20, 11
	s_delay_alu instid0(VALU_DEP_3) | instskip(SKIP_1) | instid1(VALU_DEP_3)
	v_lshl_or_b32 v16, v16, 9, 0x7c00
	s_wait_alu 0xf1ff
	v_cndmask_b32_e64 v24, v5, v4, s0
	v_mul_f64_e32 v[4:5], s[8:9], v[6:7]
	v_and_or_b32 v6, 0x1ff, v9, v8
	v_cmp_gt_i32_e64 s0, 31, v25
	s_delay_alu instid0(VALU_DEP_4) | instskip(SKIP_1) | instid1(VALU_DEP_2)
	v_and_b32_e32 v7, 7, v24
	s_wait_alu 0xf1ff
	v_cndmask_b32_e64 v8, 0x7c00, v22, s0
	v_cmp_ne_u32_e64 s0, 0, v6
	s_delay_alu instid0(VALU_DEP_3) | instskip(NEXT) | instid1(VALU_DEP_3)
	v_cmp_eq_u32_e64 s1, 3, v7
	v_cndmask_b32_e64 v8, v8, v16, s2
	s_wait_alu 0xf1ff
	s_delay_alu instid0(VALU_DEP_3) | instskip(SKIP_3) | instid1(VALU_DEP_3)
	v_cndmask_b32_e64 v22, 0, 1, s0
	v_cmp_lt_i32_e64 s0, 5, v7
	v_lshrrev_b32_e32 v16, 2, v24
	v_and_or_b32 v8, 0x8000, v17, v8
	s_or_b32 s0, s1, s0
	s_wait_alu 0xfffe
	s_delay_alu instid0(VALU_DEP_2) | instskip(SKIP_3) | instid1(VALU_DEP_2)
	v_add_co_ci_u32_e64 v16, s0, 0, v16, s0
	v_cmp_ne_u32_e64 s0, 0, v0
	v_and_b32_e32 v8, 0xffff, v8
	s_wait_alu 0xf1ff
	v_cndmask_b32_e64 v0, 0, 1, s0
	v_cmp_gt_i32_e64 s0, 31, v21
	s_delay_alu instid0(VALU_DEP_2) | instskip(SKIP_1) | instid1(VALU_DEP_2)
	v_lshl_or_b32 v0, v0, 9, 0x7c00
	s_wait_alu 0xf1ff
	v_cndmask_b32_e64 v16, 0x7c00, v16, s0
	v_cmp_eq_u32_e64 s0, 0x40f, v21
	v_and_or_b32 v4, 0x1ff, v5, v4
	v_bfe_u32 v20, v5, 20, 11
	s_wait_alu 0xf1ff
	s_delay_alu instid0(VALU_DEP_3) | instskip(SKIP_4) | instid1(VALU_DEP_2)
	v_cndmask_b32_e64 v16, v16, v0, s0
	s_wait_loadcnt 0x1
	v_mul_f16_e32 v26, v29, v23
	v_mul_f16_e32 v0, v29, v18
	s_wait_loadcnt 0x0
	v_fmac_f16_e32 v26, v28, v18
	s_delay_alu instid0(VALU_DEP_2) | instskip(SKIP_1) | instid1(VALU_DEP_3)
	v_fma_f16 v0, v28, v23, -v0
	v_lshrrev_b32_e32 v18, 16, v1
	v_cvt_f32_f16_e32 v6, v26
	v_lshrrev_b32_e32 v26, 8, v9
	s_delay_alu instid0(VALU_DEP_4) | instskip(NEXT) | instid1(VALU_DEP_4)
	v_cvt_f32_f16_e32 v23, v0
	v_and_or_b32 v16, 0x8000, v18, v16
	v_lshrrev_b32_e32 v9, 16, v9
	v_cvt_f64_f32_e32 v[6:7], v6
	v_and_or_b32 v22, 0xffe, v26, v22
	v_sub_nc_u32_e32 v26, 0x3f1, v27
	s_delay_alu instid0(VALU_DEP_2) | instskip(NEXT) | instid1(VALU_DEP_2)
	v_or_b32_e32 v24, 0x1000, v22
	v_med3_i32 v25, v26, 0, 13
	s_delay_alu instid0(VALU_DEP_1) | instskip(NEXT) | instid1(VALU_DEP_1)
	v_lshrrev_b32_e32 v26, v25, v24
	v_lshlrev_b32_e32 v17, v25, v26
	s_delay_alu instid0(VALU_DEP_1) | instskip(SKIP_3) | instid1(VALU_DEP_3)
	v_cmp_ne_u32_e64 s0, v17, v24
	v_lshrrev_b32_e32 v17, 8, v5
	v_add_nc_u32_e32 v24, 0xfffffc10, v27
	s_wait_alu 0xf1ff
	v_cndmask_b32_e64 v1, 0, 1, s0
	v_cmp_ne_u32_e64 s0, 0, v4
	s_delay_alu instid0(VALU_DEP_2) | instskip(SKIP_1) | instid1(VALU_DEP_2)
	v_or_b32_e32 v21, v26, v1
	s_wait_alu 0xf1ff
	v_cndmask_b32_e64 v4, 0, 1, s0
	v_cmp_gt_i32_e64 s0, 1, v24
	v_mul_f64_e32 v[0:1], s[8:9], v[6:7]
	v_cvt_f64_f32_e32 v[6:7], v23
	s_delay_alu instid0(VALU_DEP_4) | instskip(SKIP_2) | instid1(VALU_DEP_3)
	v_and_or_b32 v4, 0xffe, v17, v4
	v_sub_nc_u32_e32 v17, 0x3f1, v20
	v_lshl_or_b32 v23, v24, 12, v22
	v_or_b32_e32 v25, 0x1000, v4
	s_delay_alu instid0(VALU_DEP_3) | instskip(SKIP_1) | instid1(VALU_DEP_3)
	v_med3_i32 v17, v17, 0, 13
	s_wait_alu 0xf1ff
	v_cndmask_b32_e64 v18, v23, v21, s0
	v_add_co_u32 v10, s0, v10, s6
	s_wait_alu 0xf1ff
	v_add_co_ci_u32_e64 v11, s0, s7, v11, s0
	v_lshrrev_b32_e32 v21, v17, v25
	v_lshl_or_b32 v23, v16, 16, v8
	v_and_b32_e32 v8, 7, v18
	v_add_co_u32 v16, s0, v10, s6
	s_delay_alu instid0(VALU_DEP_4)
	v_lshlrev_b32_e32 v26, v17, v21
	s_wait_alu 0xf1ff
	v_add_co_ci_u32_e64 v17, s0, s7, v11, s0
	v_cmp_lt_i32_e64 s0, 5, v8
	v_cmp_eq_u32_e64 s1, 3, v8
	v_lshrrev_b32_e32 v8, 2, v18
	v_cmp_ne_u32_e64 s2, v26, v25
	v_add_nc_u32_e32 v25, 0xfffffc10, v20
	v_lshrrev_b32_e32 v26, 16, v19
	s_or_b32 s0, s1, s0
	s_wait_alu 0xfffe
	v_add_co_ci_u32_e64 v8, s0, 0, v8, s0
	v_cndmask_b32_e64 v18, 0, 1, s2
	v_cmp_ne_u32_e64 s0, 0, v22
	v_lshl_or_b32 v20, v25, 12, v4
	v_mul_f16_e32 v22, v31, v26
	s_delay_alu instid0(VALU_DEP_4)
	v_or_b32_e32 v18, v21, v18
	s_wait_alu 0xf1ff
	v_cndmask_b32_e64 v21, 0, 1, s0
	v_cmp_gt_i32_e64 s0, 1, v25
	v_and_or_b32 v0, 0x1ff, v1, v0
	v_mul_f64_e32 v[6:7], s[8:9], v[6:7]
	v_fmac_f16_e32 v22, v30, v19
	v_lshl_or_b32 v27, v21, 9, 0x7c00
	s_wait_alu 0xf1ff
	v_cndmask_b32_e64 v18, v20, v18, s0
	v_cmp_gt_i32_e64 s0, 31, v24
	v_bfe_u32 v29, v1, 20, 11
	v_cvt_f32_f16_e32 v20, v22
	v_lshrrev_b32_e32 v22, 8, v1
	v_and_b32_e32 v28, 7, v18
	s_wait_alu 0xf1ff
	v_cndmask_b32_e64 v8, 0x7c00, v8, s0
	v_cmp_ne_u32_e64 s0, 0, v0
	v_lshrrev_b32_e32 v18, 2, v18
	v_cvt_f64_f32_e32 v[20:21], v20
	v_cmp_eq_u32_e64 s1, 3, v28
	v_mul_f16_e32 v19, v31, v19
	s_wait_alu 0xf1ff
	v_cndmask_b32_e64 v0, 0, 1, s0
	v_cmp_eq_u32_e64 s0, 0x40f, v24
	s_delay_alu instid0(VALU_DEP_3) | instskip(NEXT) | instid1(VALU_DEP_3)
	v_fma_f16 v19, v30, v26, -v19
	v_and_or_b32 v0, 0xffe, v22, v0
	s_wait_alu 0xf1ff
	s_delay_alu instid0(VALU_DEP_3)
	v_cndmask_b32_e64 v8, v8, v27, s0
	v_cmp_lt_i32_e64 s0, 5, v28
	v_sub_nc_u32_e32 v22, 0x3f1, v29
	v_cvt_f32_f16_e32 v19, v19
	v_or_b32_e32 v24, 0x1000, v0
	v_and_or_b32 v27, 0x8000, v9, v8
	s_or_b32 s0, s1, s0
	v_med3_i32 v22, v22, 0, 13
	s_wait_alu 0xfffe
	v_add_co_ci_u32_e64 v18, s0, 0, v18, s0
	v_cmp_ne_u32_e64 s0, 0, v4
	v_cvt_f64_f32_e32 v[8:9], v19
	v_lshrrev_b32_e32 v26, v22, v24
	v_lshrrev_b32_e32 v28, 16, v5
	s_wait_alu 0xf1ff
	v_cndmask_b32_e64 v4, 0, 1, s0
	v_cmp_gt_i32_e64 s0, 31, v25
	v_lshlrev_b32_e32 v22, v22, v26
	v_bfe_u32 v30, v7, 20, 11
	s_delay_alu instid0(VALU_DEP_4) | instskip(SKIP_4) | instid1(VALU_DEP_1)
	v_lshl_or_b32 v4, v4, 9, 0x7c00
	s_wait_alu 0xf1ff
	v_cndmask_b32_e64 v18, 0x7c00, v18, s0
	v_cmp_eq_u32_e64 s0, 0x40f, v25
	s_wait_alu 0xf1ff
	v_cndmask_b32_e64 v25, v18, v4, s0
	v_and_or_b32 v4, 0x1ff, v7, v6
	v_cmp_ne_u32_e64 s0, v22, v24
	v_add_nc_u32_e32 v18, 0x200, v65
	v_add_nc_u32_e32 v22, 0xfffffc10, v29
	v_lshrrev_b32_e32 v29, 8, v7
	v_lshrrev_b32_e32 v7, 16, v7
	s_wait_alu 0xf1ff
	v_cndmask_b32_e64 v6, 0, 1, s0
	v_cmp_ne_u32_e64 s0, 0, v4
	ds_load_2addr_b32 v[18:19], v18 offset0:124 offset1:145
	global_store_b32 v[10:11], v14, off
	global_store_b32 v[16:17], v23, off
	v_mul_f64_e32 v[4:5], s[8:9], v[20:21]
	v_and_or_b32 v20, 0x8000, v28, v25
	s_wait_alu 0xf1ff
	v_cndmask_b32_e64 v24, 0, 1, s0
	scratch_load_b32 v28, off, off offset:8 th:TH_LOAD_LU ; 4-byte Folded Reload
	v_or_b32_e32 v6, v26, v6
	v_lshl_or_b32 v21, v22, 12, v0
	v_sub_nc_u32_e32 v25, 0x3f1, v30
	v_and_or_b32 v24, 0xffe, v29, v24
	scratch_load_b32 v29, off, off offset:16 th:TH_LOAD_LU ; 4-byte Folded Reload
	v_cmp_gt_i32_e64 s0, 1, v22
	v_and_b32_e32 v26, 0xffff, v27
	v_med3_i32 v25, v25, 0, 13
	v_mul_f64_e32 v[8:9], s[8:9], v[8:9]
	s_wait_alu 0xf1ff
	v_cndmask_b32_e64 v6, v21, v6, s0
	v_or_b32_e32 v21, 0x1000, v24
	v_lshl_or_b32 v14, v20, 16, v26
	v_add_co_u32 v10, s0, v16, s6
	s_delay_alu instid0(VALU_DEP_4) | instskip(NEXT) | instid1(VALU_DEP_4)
	v_and_b32_e32 v20, 7, v6
	v_lshrrev_b32_e32 v23, v25, v21
	s_wait_alu 0xf1ff
	v_add_co_ci_u32_e64 v11, s0, s7, v17, s0
	s_wait_dscnt 0x0
	v_lshrrev_b32_e32 v26, 16, v18
	v_cmp_lt_i32_e64 s0, 5, v20
	v_lshlrev_b32_e32 v16, v25, v23
	v_cmp_eq_u32_e64 s1, 3, v20
	v_lshrrev_b32_e32 v6, 2, v6
	v_add_nc_u32_e32 v20, 0xfffffc10, v30
	global_store_b32 v[10:11], v14, off
	v_cmp_ne_u32_e64 s2, v16, v21
	s_or_b32 s0, s1, s0
	s_wait_alu 0xfffe
	v_add_co_ci_u32_e64 v6, s0, 0, v6, s0
	s_delay_alu instid0(VALU_DEP_2) | instskip(SKIP_3) | instid1(VALU_DEP_4)
	v_cndmask_b32_e64 v16, 0, 1, s2
	v_cmp_ne_u32_e64 s0, 0, v0
	v_and_or_b32 v4, 0x1ff, v5, v4
	v_bfe_u32 v25, v5, 20, 11
	v_or_b32_e32 v21, v23, v16
	v_lshl_or_b32 v23, v20, 12, v24
	s_wait_alu 0xf1ff
	v_cndmask_b32_e64 v0, 0, 1, s0
	v_cmp_gt_i32_e64 s0, 1, v20
	s_delay_alu instid0(VALU_DEP_2) | instskip(SKIP_1) | instid1(VALU_DEP_2)
	v_lshl_or_b32 v0, v0, 9, 0x7c00
	s_wait_alu 0xf1ff
	v_cndmask_b32_e64 v21, v23, v21, s0
	v_cmp_ne_u32_e64 s0, 0, v4
	v_lshrrev_b32_e32 v23, 8, v5
	v_and_or_b32 v8, 0x1ff, v9, v8
	v_lshrrev_b32_e32 v5, 16, v5
	v_and_b32_e32 v27, 7, v21
	s_wait_alu 0xf1ff
	v_cndmask_b32_e64 v4, 0, 1, s0
	v_cmp_gt_i32_e64 s0, 31, v22
	s_delay_alu instid0(VALU_DEP_3) | instskip(NEXT) | instid1(VALU_DEP_3)
	v_cmp_eq_u32_e64 s1, 3, v27
	v_and_or_b32 v4, 0xffe, v23, v4
	s_wait_alu 0xf1ff
	s_delay_alu instid0(VALU_DEP_3) | instskip(SKIP_3) | instid1(VALU_DEP_3)
	v_cndmask_b32_e64 v6, 0x7c00, v6, s0
	v_sub_nc_u32_e32 v23, 0x3f1, v25
	v_cmp_eq_u32_e64 s0, 0x40f, v22
	v_add_nc_u32_e32 v25, 0xfffffc10, v25
	v_med3_i32 v22, v23, 0, 13
	s_wait_alu 0xf1ff
	s_delay_alu instid0(VALU_DEP_3) | instskip(SKIP_4) | instid1(VALU_DEP_4)
	v_cndmask_b32_e64 v6, v6, v0, s0
	v_or_b32_e32 v0, 0x1000, v4
	v_cmp_lt_i32_e64 s0, 5, v27
	v_lshrrev_b32_e32 v23, 16, v1
	v_lshrrev_b32_e32 v1, 2, v21
	;; [unrolled: 1-line block ×3, first 2 shown]
	s_delay_alu instid0(VALU_DEP_4) | instskip(NEXT) | instid1(VALU_DEP_3)
	s_or_b32 s0, s1, s0
	v_and_or_b32 v6, 0x8000, v23, v6
	s_wait_alu 0xfffe
	v_add_co_ci_u32_e64 v27, s0, 0, v1, s0
	v_lshlrev_b32_e32 v1, v22, v21
	v_cmp_ne_u32_e64 s0, 0, v8
	v_lshrrev_b32_e32 v22, 8, v9
	v_lshrrev_b32_e32 v23, 16, v19
	s_wait_alu 0xf1ff
	s_delay_alu instid0(VALU_DEP_3) | instskip(SKIP_1) | instid1(VALU_DEP_2)
	v_cndmask_b32_e64 v8, 0, 1, s0
	v_cmp_ne_u32_e64 s0, v1, v0
	v_and_or_b32 v8, 0xffe, v22, v8
	s_wait_loadcnt 0x0
	v_mul_f16_e32 v17, v29, v26
	s_delay_alu instid0(VALU_DEP_1)
	v_fmac_f16_e32 v17, v28, v18
	v_mul_f16_e32 v18, v29, v18
	scratch_load_b32 v29, off, off offset:4 th:TH_LOAD_LU ; 4-byte Folded Reload
	v_cvt_f32_f16_e32 v16, v17
	v_fma_f16 v18, v28, v26, -v18
	v_bfe_u32 v26, v9, 20, 11
	s_wait_alu 0xf1ff
	v_cndmask_b32_e64 v28, 0, 1, s0
	v_cmp_ne_u32_e64 s0, 0, v24
	v_cvt_f64_f32_e32 v[16:17], v16
	v_cvt_f32_f16_e32 v18, v18
	v_sub_nc_u32_e32 v22, 0x3f1, v26
	v_or_b32_e32 v21, v21, v28
	v_lshl_or_b32 v24, v25, 12, v4
	v_or_b32_e32 v28, 0x1000, v8
	s_delay_alu instid0(VALU_DEP_4)
	v_med3_i32 v22, v22, 0, 13
	v_mul_f64_e32 v[0:1], s[8:9], v[16:17]
	v_cvt_f64_f32_e32 v[16:17], v18
	s_wait_alu 0xf1ff
	v_cndmask_b32_e64 v18, 0, 1, s0
	v_cmp_gt_i32_e64 s0, 31, v20
	s_delay_alu instid0(VALU_DEP_2) | instskip(SKIP_1) | instid1(VALU_DEP_2)
	v_lshl_or_b32 v18, v18, 9, 0x7c00
	s_wait_alu 0xf1ff
	v_cndmask_b32_e64 v27, 0x7c00, v27, s0
	v_cmp_gt_i32_e64 s0, 1, v25
	s_wait_alu 0xf1ff
	s_delay_alu instid0(VALU_DEP_1) | instskip(SKIP_2) | instid1(VALU_DEP_3)
	v_cndmask_b32_e64 v21, v24, v21, s0
	v_lshrrev_b32_e32 v24, v22, v28
	v_cmp_eq_u32_e64 s0, 0x40f, v20
	v_and_b32_e32 v20, 7, v21
	s_delay_alu instid0(VALU_DEP_3) | instskip(SKIP_1) | instid1(VALU_DEP_3)
	v_lshlrev_b32_e32 v22, v22, v24
	s_wait_alu 0xf1ff
	v_cndmask_b32_e64 v18, v27, v18, s0
	s_delay_alu instid0(VALU_DEP_3) | instskip(NEXT) | instid1(VALU_DEP_3)
	v_cmp_lt_i32_e64 s0, 5, v20
	v_cmp_ne_u32_e64 s1, v22, v28
	scratch_load_b32 v28, off, off th:TH_LOAD_LU ; 4-byte Folded Reload
	v_and_or_b32 v14, 0x8000, v7, v18
	v_add_nc_u32_e32 v18, 0xfffffc10, v26
	s_wait_alu 0xf1ff
	v_cndmask_b32_e64 v7, 0, 1, s1
	v_cmp_eq_u32_e64 s1, 3, v20
	v_and_b32_e32 v20, 0xffff, v6
	v_lshrrev_b32_e32 v6, 2, v21
	v_lshl_or_b32 v21, v18, 12, v8
	v_or_b32_e32 v7, v24, v7
	s_or_b32 s0, s1, s0
	v_lshl_or_b32 v14, v14, 16, v20
	s_wait_alu 0xfffe
	v_add_co_ci_u32_e64 v22, s0, 0, v6, s0
	v_cmp_ne_u32_e64 s0, 0, v4
	v_and_or_b32 v0, 0x1ff, v1, v0
	v_lshrrev_b32_e32 v24, 8, v1
	v_bfe_u32 v26, v1, 20, 11
	v_lshrrev_b32_e32 v1, 16, v1
	s_wait_alu 0xf1ff
	v_cndmask_b32_e64 v4, 0, 1, s0
	v_cmp_gt_i32_e64 s0, 1, v18
	s_delay_alu instid0(VALU_DEP_2) | instskip(SKIP_1) | instid1(VALU_DEP_2)
	v_lshl_or_b32 v4, v4, 9, 0x7c00
	s_wait_alu 0xf1ff
	v_cndmask_b32_e64 v21, v21, v7, s0
	v_cmp_gt_i32_e64 s0, 31, v25
	v_mul_f64_e32 v[6:7], s[8:9], v[16:17]
	s_wait_alu 0xf1ff
	s_delay_alu instid0(VALU_DEP_2) | instskip(SKIP_4) | instid1(VALU_DEP_3)
	v_cndmask_b32_e64 v16, 0x7c00, v22, s0
	v_cmp_ne_u32_e64 s0, 0, v0
	v_and_b32_e32 v22, 7, v21
	v_lshrrev_b32_e32 v21, 2, v21
	s_wait_alu 0xf1ff
	v_cndmask_b32_e64 v0, 0, 1, s0
	v_cmp_eq_u32_e64 s0, 0x40f, v25
	v_cmp_eq_u32_e64 s1, 3, v22
	s_delay_alu instid0(VALU_DEP_3) | instskip(SKIP_1) | instid1(VALU_DEP_3)
	v_and_or_b32 v0, 0xffe, v24, v0
	s_wait_alu 0xf1ff
	v_cndmask_b32_e64 v4, v16, v4, s0
	v_cmp_lt_i32_e64 s0, 5, v22
	v_sub_nc_u32_e32 v24, 0x3f1, v26
	v_or_b32_e32 v22, 0x1000, v0
	s_delay_alu instid0(VALU_DEP_4) | instskip(NEXT) | instid1(VALU_DEP_4)
	v_and_or_b32 v27, 0x8000, v5, v4
	s_or_b32 s0, s1, s0
	s_delay_alu instid0(VALU_DEP_3) | instskip(SKIP_3) | instid1(VALU_DEP_3)
	v_med3_i32 v24, v24, 0, 13
	s_wait_alu 0xfffe
	v_add_co_ci_u32_e64 v21, s0, 0, v21, s0
	v_cmp_ne_u32_e64 s0, 0, v8
	v_lshrrev_b32_e32 v25, v24, v22
	s_wait_alu 0xf1ff
	s_delay_alu instid0(VALU_DEP_2) | instskip(SKIP_1) | instid1(VALU_DEP_3)
	v_cndmask_b32_e64 v8, 0, 1, s0
	v_cmp_gt_i32_e64 s0, 31, v18
	v_lshlrev_b32_e32 v5, v24, v25
	s_delay_alu instid0(VALU_DEP_3) | instskip(SKIP_1) | instid1(VALU_DEP_3)
	v_lshl_or_b32 v8, v8, 9, 0x7c00
	s_wait_alu 0xf1ff
	v_cndmask_b32_e64 v21, 0x7c00, v21, s0
	v_cmp_eq_u32_e64 s0, 0x40f, v18
	v_and_or_b32 v6, 0x1ff, v7, v6
	s_wait_alu 0xf1ff
	s_delay_alu instid0(VALU_DEP_2) | instskip(SKIP_4) | instid1(VALU_DEP_3)
	v_cndmask_b32_e64 v18, v21, v8, s0
	v_cmp_ne_u32_e64 s0, v5, v22
	v_add_nc_u32_e32 v22, 0xfffffc10, v26
	v_bfe_u32 v21, v7, 20, 11
	s_wait_alu 0xf1ff
	v_cndmask_b32_e64 v8, 0, 1, s0
	v_cmp_ne_u32_e64 s0, 0, v6
	v_lshl_or_b32 v24, v22, 12, v0
	s_wait_alu 0xf1ff
	s_delay_alu instid0(VALU_DEP_2)
	v_cndmask_b32_e64 v6, 0, 1, s0
	v_cmp_gt_i32_e64 s0, 1, v22
	s_wait_loadcnt 0x1
	v_mul_f16_e32 v17, v29, v23
	v_mul_f16_e32 v4, v29, v19
	s_wait_loadcnt 0x0
	s_delay_alu instid0(VALU_DEP_2) | instskip(NEXT) | instid1(VALU_DEP_2)
	v_fmac_f16_e32 v17, v28, v19
	v_fma_f16 v4, v28, v23, -v4
	v_lshrrev_b32_e32 v19, 16, v9
	v_lshrrev_b32_e32 v9, 8, v7
	v_or_b32_e32 v23, v25, v8
	v_cvt_f32_f16_e32 v16, v17
	v_cvt_f32_f16_e32 v4, v4
	v_sub_nc_u32_e32 v25, 0x3f1, v21
	v_and_or_b32 v6, 0xffe, v9, v6
	ds_load_2addr_b32 v[8:9], v15 offset0:38 offset1:59
	v_cvt_f64_f32_e32 v[16:17], v16
	v_cvt_f64_f32_e32 v[4:5], v4
	s_wait_alu 0xf1ff
	v_cndmask_b32_e64 v23, v24, v23, s0
	v_or_b32_e32 v24, 0x1000, v6
	v_med3_i32 v25, v25, 0, 13
	v_and_or_b32 v18, 0x8000, v19, v18
	v_and_b32_e32 v19, 0xffff, v27
	v_and_b32_e32 v20, 7, v23
	v_add_co_u32 v10, s0, v10, s6
	v_lshrrev_b32_e32 v26, v25, v24
	s_delay_alu instid0(VALU_DEP_4)
	v_lshl_or_b32 v27, v18, 16, v19
	s_wait_alu 0xf1ff
	v_add_co_ci_u32_e64 v11, s0, s7, v11, s0
	v_cmp_lt_i32_e64 s0, 5, v20
	v_lshlrev_b32_e32 v18, v25, v26
	v_cmp_eq_u32_e64 s1, 3, v20
	v_lshrrev_b32_e32 v19, 2, v23
	v_add_nc_u32_e32 v23, 0xfffffc10, v21
	s_wait_dscnt 0x0
	v_lshrrev_b32_e32 v25, 16, v8
	v_cmp_ne_u32_e64 s2, v18, v24
	s_or_b32 s0, s1, s0
	s_wait_alu 0xfffe
	v_add_co_ci_u32_e64 v19, s0, 0, v19, s0
	s_delay_alu instid0(VALU_DEP_2) | instskip(SKIP_3) | instid1(VALU_DEP_4)
	v_cndmask_b32_e64 v18, 0, 1, s2
	v_mul_f16_e32 v20, v87, v25
	v_cmp_ne_u32_e64 s0, 0, v0
	v_lshl_or_b32 v21, v23, 12, v6
	v_or_b32_e32 v18, v26, v18
	s_delay_alu instid0(VALU_DEP_4) | instskip(SKIP_3) | instid1(VALU_DEP_2)
	v_fmac_f16_e32 v20, v105, v8
	s_wait_alu 0xf1ff
	v_cndmask_b32_e64 v0, 0, 1, s0
	v_cmp_gt_i32_e64 s0, 1, v23
	v_lshl_or_b32 v0, v0, 9, 0x7c00
	v_mul_f64_e32 v[16:17], s[8:9], v[16:17]
	v_mul_f64_e32 v[4:5], s[8:9], v[4:5]
	s_wait_alu 0xf1ff
	v_cndmask_b32_e64 v24, v21, v18, s0
	v_cvt_f32_f16_e32 v18, v20
	v_cmp_gt_i32_e64 s0, 31, v22
	s_delay_alu instid0(VALU_DEP_3) | instskip(SKIP_2) | instid1(VALU_DEP_3)
	v_and_b32_e32 v28, 7, v24
	v_lshrrev_b32_e32 v24, 2, v24
	s_wait_alu 0xf1ff
	v_cndmask_b32_e64 v26, 0x7c00, v19, s0
	v_cvt_f64_f32_e32 v[18:19], v18
	v_add_co_u32 v20, s0, v10, s6
	s_wait_alu 0xf1ff
	v_add_co_ci_u32_e64 v21, s0, s7, v11, s0
	v_cmp_eq_u32_e64 s0, 0x40f, v22
	global_store_b32 v[10:11], v14, off
	global_store_b32 v[20:21], v27, off
	s_wait_alu 0xf1ff
	v_cndmask_b32_e64 v0, v26, v0, s0
	v_cmp_lt_i32_e64 s0, 5, v28
	s_delay_alu instid0(VALU_DEP_2)
	v_and_or_b32 v29, 0x8000, v1, v0
	v_and_or_b32 v16, 0x1ff, v17, v16
	v_lshrrev_b32_e32 v22, 8, v17
	v_bfe_u32 v26, v17, 20, 11
	v_and_or_b32 v0, 0x1ff, v5, v4
	v_lshrrev_b32_e32 v17, 16, v17
	v_cmp_ne_u32_e64 s1, 0, v16
	s_wait_alu 0xf1ff
	s_delay_alu instid0(VALU_DEP_1) | instskip(SKIP_1) | instid1(VALU_DEP_2)
	v_cndmask_b32_e64 v16, 0, 1, s1
	v_cmp_eq_u32_e64 s1, 3, v28
	v_and_or_b32 v16, 0xffe, v22, v16
	s_delay_alu instid0(VALU_DEP_2)
	s_or_b32 s0, s1, s0
	v_sub_nc_u32_e32 v22, 0x3f1, v26
	s_wait_alu 0xfffe
	v_add_co_ci_u32_e64 v24, s0, 0, v24, s0
	v_cmp_ne_u32_e64 s0, 0, v6
	v_or_b32_e32 v28, 0x1000, v16
	v_med3_i32 v22, v22, 0, 13
	s_wait_alu 0xf1ff
	s_delay_alu instid0(VALU_DEP_3) | instskip(SKIP_1) | instid1(VALU_DEP_3)
	v_cndmask_b32_e64 v6, 0, 1, s0
	v_cmp_gt_i32_e64 s0, 31, v23
	v_lshrrev_b32_e32 v30, v22, v28
	s_delay_alu instid0(VALU_DEP_3) | instskip(SKIP_1) | instid1(VALU_DEP_3)
	v_lshl_or_b32 v6, v6, 9, 0x7c00
	s_wait_alu 0xf1ff
	v_cndmask_b32_e64 v24, 0x7c00, v24, s0
	v_cmp_eq_u32_e64 s0, 0x40f, v23
	v_lshrrev_b32_e32 v23, 16, v7
	v_mul_f16_e32 v7, v87, v8
	s_wait_alu 0xf1ff
	s_delay_alu instid0(VALU_DEP_3)
	v_cndmask_b32_e64 v4, v24, v6, s0
	v_lshlrev_b32_e32 v6, v22, v30
	v_cmp_ne_u32_e64 s0, 0, v0
	v_lshrrev_b32_e32 v22, 8, v5
	v_bfe_u32 v24, v5, 20, 11
	v_mul_f64_e32 v[0:1], s[8:9], v[18:19]
	v_fma_f16 v7, v105, v25, -v7
	s_wait_alu 0xf1ff
	v_cndmask_b32_e64 v8, 0, 1, s0
	v_cmp_ne_u32_e64 s0, v6, v28
	v_add_nc_u32_e32 v25, 0xfffffc10, v26
	v_sub_nc_u32_e32 v18, 0x3f1, v24
	v_cvt_f32_f16_e32 v7, v7
	v_and_or_b32 v8, 0xffe, v22, v8
	s_wait_alu 0xf1ff
	v_cndmask_b32_e64 v6, 0, 1, s0
	v_lshl_or_b32 v22, v25, 12, v16
	v_med3_i32 v18, v18, 0, 13
	v_cmp_gt_i32_e64 s0, 1, v25
	v_or_b32_e32 v26, 0x1000, v8
	v_or_b32_e32 v19, v30, v6
	v_cvt_f64_f32_e32 v[6:7], v7
	v_and_or_b32 v4, 0x8000, v23, v4
	v_and_b32_e32 v23, 0xffff, v29
	v_cmp_eq_u32_e64 s2, 0x40f, v25
	s_wait_alu 0xf1ff
	v_cndmask_b32_e64 v19, v22, v19, s0
	v_lshrrev_b32_e32 v22, v18, v26
	v_add_co_u32 v10, s0, v20, s6
	v_lshl_or_b32 v14, v4, 16, v23
	s_delay_alu instid0(VALU_DEP_4) | instskip(NEXT) | instid1(VALU_DEP_4)
	v_and_b32_e32 v4, 7, v19
	v_lshlrev_b32_e32 v18, v18, v22
	v_lshrrev_b32_e32 v20, 16, v9
	s_wait_alu 0xf1ff
	v_add_co_ci_u32_e64 v11, s0, s7, v21, s0
	v_cmp_lt_i32_e64 s0, 5, v4
	v_cmp_ne_u32_e64 s1, v18, v26
	v_add_nc_u32_e32 v21, 0xfffffc10, v24
	v_mul_f16_e32 v23, v104, v20
	v_lshrrev_b32_e32 v5, 16, v5
	s_wait_alu 0xf1ff
	v_cndmask_b32_e64 v18, 0, 1, s1
	v_cmp_eq_u32_e64 s1, 3, v4
	v_lshrrev_b32_e32 v4, 2, v19
	v_lshl_or_b32 v19, v21, 12, v8
	v_fmac_f16_e32 v23, v102, v9
	v_or_b32_e32 v18, v22, v18
	s_or_b32 s0, s1, s0
	v_and_or_b32 v0, 0x1ff, v1, v0
	s_wait_alu 0xfffe
	v_add_co_ci_u32_e64 v4, s0, 0, v4, s0
	v_cmp_gt_i32_e64 s0, 1, v21
	v_cvt_f32_f16_e32 v22, v23
	v_lshrrev_b32_e32 v24, 8, v1
	s_wait_alu 0xf1ff
	s_delay_alu instid0(VALU_DEP_3)
	v_cndmask_b32_e64 v23, v19, v18, s0
	v_cmp_ne_u32_e64 s0, 0, v0
	v_cvt_f64_f32_e32 v[18:19], v22
	v_bfe_u32 v22, v1, 20, 11
	v_mul_f64_e32 v[6:7], s[8:9], v[6:7]
	v_and_b32_e32 v26, 7, v23
	s_wait_alu 0xf1ff
	v_cndmask_b32_e64 v0, 0, 1, s0
	v_cmp_ne_u32_e64 s0, 0, v16
	v_lshrrev_b32_e32 v23, 2, v23
	v_lshrrev_b32_e32 v1, 16, v1
	v_cmp_eq_u32_e64 s1, 3, v26
	v_and_or_b32 v0, 0xffe, v24, v0
	s_wait_alu 0xf1ff
	v_cndmask_b32_e64 v16, 0, 1, s0
	v_cmp_gt_i32_e64 s0, 31, v25
	v_sub_nc_u32_e32 v24, 0x3f1, v22
	v_add_nc_u32_e32 v22, 0xfffffc10, v22
	v_or_b32_e32 v27, 0x1000, v0
	v_lshl_or_b32 v16, v16, 9, 0x7c00
	s_wait_alu 0xf1ff
	v_cndmask_b32_e64 v4, 0x7c00, v4, s0
	v_cmp_lt_i32_e64 s0, 5, v26
	v_med3_i32 v24, v24, 0, 13
	s_delay_alu instid0(VALU_DEP_3) | instskip(NEXT) | instid1(VALU_DEP_3)
	v_cndmask_b32_e64 v4, v4, v16, s2
	s_or_b32 s0, s1, s0
	s_delay_alu instid0(VALU_DEP_2)
	v_lshrrev_b32_e32 v16, v24, v27
	s_wait_alu 0xfffe
	v_add_co_ci_u32_e64 v23, s0, 0, v23, s0
	v_cmp_ne_u32_e64 s0, 0, v8
	v_and_or_b32 v17, 0x8000, v17, v4
	v_lshlrev_b32_e32 v24, v24, v16
	s_wait_alu 0xf1ff
	s_delay_alu instid0(VALU_DEP_3) | instskip(SKIP_2) | instid1(VALU_DEP_3)
	v_cndmask_b32_e64 v8, 0, 1, s0
	v_cmp_gt_i32_e64 s0, 31, v21
	v_and_b32_e32 v17, 0xffff, v17
	v_lshl_or_b32 v8, v8, 9, 0x7c00
	s_wait_alu 0xf1ff
	s_delay_alu instid0(VALU_DEP_3) | instskip(SKIP_3) | instid1(VALU_DEP_2)
	v_cndmask_b32_e64 v23, 0x7c00, v23, s0
	v_cmp_ne_u32_e64 s0, v24, v27
	v_and_or_b32 v6, 0x1ff, v7, v6
	s_wait_alu 0xf1ff
	v_cndmask_b32_e64 v4, 0, 1, s0
	v_cmp_eq_u32_e64 s0, 0x40f, v21
	s_delay_alu instid0(VALU_DEP_2) | instskip(SKIP_1) | instid1(VALU_DEP_2)
	v_or_b32_e32 v4, v16, v4
	s_wait_alu 0xf1ff
	v_cndmask_b32_e64 v21, v23, v8, s0
	ds_load_b32 v23, v65 offset:1344
	v_mul_f16_e32 v16, v104, v9
	v_mul_f64_e32 v[8:9], s[8:9], v[18:19]
	v_lshl_or_b32 v18, v22, 12, v0
	v_cmp_gt_i32_e64 s0, 1, v22
	v_bfe_u32 v19, v7, 20, 11
	v_fma_f16 v16, v102, v20, -v16
	v_and_or_b32 v20, 0x8000, v5, v21
	s_wait_alu 0xf1ff
	v_cndmask_b32_e64 v18, v18, v4, s0
	v_cmp_ne_u32_e64 s0, 0, v6
	v_cvt_f32_f16_e32 v4, v16
	v_lshrrev_b32_e32 v16, 8, v7
	v_lshl_or_b32 v27, v20, 16, v17
	v_and_b32_e32 v21, 7, v18
	s_wait_alu 0xf1ff
	v_cndmask_b32_e64 v6, 0, 1, s0
	v_cvt_f64_f32_e32 v[4:5], v4
	v_lshrrev_b32_e32 v17, 2, v18
	v_cmp_lt_i32_e64 s0, 5, v21
	s_delay_alu instid0(VALU_DEP_4)
	v_and_or_b32 v6, 0xffe, v16, v6
	v_sub_nc_u32_e32 v16, 0x3f1, v19
	s_wait_dscnt 0x0
	v_lshrrev_b32_e32 v24, 16, v23
	v_cmp_eq_u32_e64 s1, 3, v21
	v_or_b32_e32 v25, 0x1000, v6
	v_med3_i32 v16, v16, 0, 13
	s_delay_alu instid0(VALU_DEP_4) | instskip(NEXT) | instid1(VALU_DEP_4)
	v_mul_f16_e32 v26, v103, v24
	s_or_b32 s0, s1, s0
	s_wait_alu 0xfffe
	v_add_co_ci_u32_e64 v17, s0, 0, v17, s0
	v_lshrrev_b32_e32 v18, v16, v25
	v_fmac_f16_e32 v26, v99, v23
	v_cmp_ne_u32_e64 s0, 0, v0
	s_delay_alu instid0(VALU_DEP_3) | instskip(NEXT) | instid1(VALU_DEP_3)
	v_lshlrev_b32_e32 v20, v16, v18
	v_cvt_f32_f16_e32 v16, v26
	s_wait_alu 0xf1ff
	s_delay_alu instid0(VALU_DEP_3) | instskip(SKIP_3) | instid1(VALU_DEP_4)
	v_cndmask_b32_e64 v0, 0, 1, s0
	v_cmp_gt_i32_e64 s0, 31, v22
	v_and_or_b32 v8, 0x1ff, v9, v8
	v_bfe_u32 v26, v9, 20, 11
	v_lshl_or_b32 v0, v0, 9, 0x7c00
	s_wait_alu 0xf1ff
	v_cndmask_b32_e64 v21, 0x7c00, v17, s0
	v_cvt_f64_f32_e32 v[16:17], v16
	v_cmp_ne_u32_e64 s0, v20, v25
	v_add_nc_u32_e32 v25, 0xfffffc10, v19
	v_mul_f16_e32 v19, v103, v23
	v_lshrrev_b32_e32 v23, 8, v9
	v_lshrrev_b32_e32 v9, 16, v9
	s_wait_alu 0xf1ff
	v_cndmask_b32_e64 v20, 0, 1, s0
	v_cmp_ne_u32_e64 s0, 0, v8
	v_fma_f16 v19, v99, v24, -v19
	v_mul_f64_e32 v[4:5], s[8:9], v[4:5]
	s_delay_alu instid0(VALU_DEP_4)
	v_or_b32_e32 v18, v18, v20
	s_wait_alu 0xf1ff
	v_cndmask_b32_e64 v8, 0, 1, s0
	v_lshl_or_b32 v20, v25, 12, v6
	v_cmp_gt_i32_e64 s0, 1, v25
	v_cvt_f32_f16_e32 v19, v19
	s_delay_alu instid0(VALU_DEP_4)
	v_and_or_b32 v8, 0xffe, v23, v8
	v_sub_nc_u32_e32 v23, 0x3f1, v26
	s_wait_alu 0xf1ff
	v_cndmask_b32_e64 v24, v20, v18, s0
	v_cmp_eq_u32_e64 s0, 0x40f, v22
	v_cvt_f64_f32_e32 v[18:19], v19
	v_or_b32_e32 v28, 0x1000, v8
	v_med3_i32 v23, v23, 0, 13
	v_and_b32_e32 v22, 7, v24
	s_wait_alu 0xf1ff
	v_cndmask_b32_e64 v0, v21, v0, s0
	v_add_co_u32 v20, s0, v10, s6
	v_lshrrev_b32_e32 v29, v23, v28
	s_wait_alu 0xf1ff
	v_add_co_ci_u32_e64 v21, s0, s7, v11, s0
	v_cmp_lt_i32_e64 s0, 5, v22
	v_cmp_eq_u32_e64 s1, 3, v22
	v_lshrrev_b32_e32 v22, 2, v24
	v_lshlrev_b32_e32 v23, v23, v29
	v_and_or_b32 v30, 0x8000, v1, v0
	v_add_nc_u32_e32 v24, 0xfffffc10, v26
	s_or_b32 s0, s1, s0
	v_mul_f64_e32 v[0:1], s[8:9], v[16:17]
	s_wait_alu 0xfffe
	v_add_co_ci_u32_e64 v16, s0, 0, v22, s0
	v_cmp_ne_u32_e64 s2, v23, v28
	v_cmp_ne_u32_e64 s0, 0, v6
	v_lshl_or_b32 v22, v24, 12, v8
	s_wait_alu 0xf1ff
	s_delay_alu instid0(VALU_DEP_3) | instskip(NEXT) | instid1(VALU_DEP_3)
	v_cndmask_b32_e64 v23, 0, 1, s2
	v_cndmask_b32_e64 v6, 0, 1, s0
	v_cmp_gt_i32_e64 s0, 31, v25
	v_and_or_b32 v4, 0x1ff, v5, v4
	s_delay_alu instid0(VALU_DEP_4) | instskip(NEXT) | instid1(VALU_DEP_4)
	v_or_b32_e32 v17, v29, v23
	v_lshl_or_b32 v6, v6, 9, 0x7c00
	s_wait_alu 0xf1ff
	v_cndmask_b32_e64 v16, 0x7c00, v16, s0
	v_cmp_gt_i32_e64 s0, 1, v24
	s_wait_alu 0xf1ff
	s_delay_alu instid0(VALU_DEP_1) | instskip(SKIP_3) | instid1(VALU_DEP_4)
	v_cndmask_b32_e64 v17, v22, v17, s0
	v_cmp_eq_u32_e64 s0, 0x40f, v25
	v_lshrrev_b32_e32 v22, 16, v7
	v_lshrrev_b32_e32 v25, 8, v5
	v_and_b32_e32 v23, 7, v17
	s_wait_alu 0xf1ff
	v_cndmask_b32_e64 v16, v16, v6, s0
	v_cmp_ne_u32_e64 s0, 0, v4
	v_mul_f64_e32 v[6:7], s[8:9], v[18:19]
	v_bfe_u32 v18, v5, 20, 11
	v_cmp_eq_u32_e64 s1, 3, v23
	v_lshrrev_b32_e32 v17, 2, v17
	s_wait_alu 0xf1ff
	v_cndmask_b32_e64 v4, 0, 1, s0
	v_cmp_lt_i32_e64 s0, 5, v23
	v_and_or_b32 v16, 0x8000, v22, v16
	v_and_b32_e32 v19, 0xffff, v30
	v_sub_nc_u32_e32 v22, 0x3f1, v18
	v_and_or_b32 v4, 0xffe, v25, v4
	s_or_b32 s0, s1, s0
	v_and_or_b32 v0, 0x1ff, v1, v0
	s_wait_alu 0xfffe
	v_add_co_ci_u32_e64 v17, s0, 0, v17, s0
	v_lshl_or_b32 v16, v16, 16, v19
	v_or_b32_e32 v19, 0x1000, v4
	v_med3_i32 v22, v22, 0, 13
	v_cmp_ne_u32_e64 s0, 0, v8
	v_lshrrev_b32_e32 v25, 8, v1
	v_bfe_u32 v26, v1, 20, 11
	v_add_nc_u32_e32 v18, 0xfffffc10, v18
	v_lshrrev_b32_e32 v23, v22, v19
	s_wait_alu 0xf1ff
	v_cndmask_b32_e64 v8, 0, 1, s0
	v_cmp_gt_i32_e64 s0, 31, v24
	v_lshrrev_b32_e32 v5, 16, v5
	v_lshrrev_b32_e32 v1, 16, v1
	v_lshlrev_b32_e32 v22, v22, v23
	v_lshl_or_b32 v8, v8, 9, 0x7c00
	s_wait_alu 0xf1ff
	v_cndmask_b32_e64 v17, 0x7c00, v17, s0
	v_cmp_ne_u32_e64 s0, 0, v0
	s_wait_alu 0xf1ff
	s_delay_alu instid0(VALU_DEP_1) | instskip(SKIP_3) | instid1(VALU_DEP_4)
	v_cndmask_b32_e64 v0, 0, 1, s0
	v_cmp_ne_u32_e64 s0, v22, v19
	v_sub_nc_u32_e32 v22, 0x3f1, v26
	v_and_or_b32 v6, 0x1ff, v7, v6
	v_and_or_b32 v0, 0xffe, v25, v0
	s_wait_alu 0xf1ff
	v_cndmask_b32_e64 v19, 0, 1, s0
	v_cmp_eq_u32_e64 s0, 0x40f, v24
	v_med3_i32 v22, v22, 0, 13
	v_lshrrev_b32_e32 v24, 8, v7
	v_bfe_u32 v25, v7, 20, 11
	s_wait_alu 0xf1ff
	v_cndmask_b32_e64 v8, v17, v8, s0
	v_or_b32_e32 v17, v23, v19
	v_lshl_or_b32 v19, v18, 12, v4
	v_or_b32_e32 v23, 0x1000, v0
	v_cmp_gt_i32_e64 s0, 1, v18
	v_and_or_b32 v8, 0x8000, v9, v8
	v_sub_nc_u32_e32 v9, 0x3f1, v25
	s_wait_alu 0xf1ff
	s_delay_alu instid0(VALU_DEP_3)
	v_cndmask_b32_e64 v17, v19, v17, s0
	v_lshrrev_b32_e32 v19, v22, v23
	v_cmp_ne_u32_e64 s0, 0, v6
	v_med3_i32 v9, v9, 0, 13
	v_and_b32_e32 v8, 0xffff, v8
	v_and_b32_e32 v28, 7, v17
	v_lshlrev_b32_e32 v22, v22, v19
	s_wait_alu 0xf1ff
	v_cndmask_b32_e64 v6, 0, 1, s0
	v_lshrrev_b32_e32 v17, 2, v17
	v_cmp_lt_i32_e64 s0, 5, v28
	v_cmp_ne_u32_e64 s1, v22, v23
	s_delay_alu instid0(VALU_DEP_4) | instskip(SKIP_2) | instid1(VALU_DEP_3)
	v_and_or_b32 v6, 0xffe, v24, v6
	v_add_nc_u32_e32 v24, 0xfffffc10, v26
	s_wait_alu 0xf1ff
	v_cndmask_b32_e64 v22, 0, 1, s1
	v_cmp_eq_u32_e64 s1, 3, v28
	v_or_b32_e32 v23, 0x1000, v6
	v_lshl_or_b32 v26, v24, 12, v0
	s_delay_alu instid0(VALU_DEP_4) | instskip(NEXT) | instid1(VALU_DEP_4)
	v_or_b32_e32 v19, v19, v22
	s_or_b32 s0, s1, s0
	s_delay_alu instid0(VALU_DEP_3) | instskip(SKIP_3) | instid1(VALU_DEP_3)
	v_lshrrev_b32_e32 v22, v9, v23
	s_wait_alu 0xfffe
	v_add_co_ci_u32_e64 v17, s0, 0, v17, s0
	v_cmp_gt_i32_e64 s0, 1, v24
	v_lshlrev_b32_e32 v9, v9, v22
	s_wait_alu 0xf1ff
	s_delay_alu instid0(VALU_DEP_2) | instskip(SKIP_2) | instid1(VALU_DEP_1)
	v_cndmask_b32_e64 v19, v26, v19, s0
	v_cmp_ne_u32_e64 s0, 0, v4
	s_wait_alu 0xf1ff
	v_cndmask_b32_e64 v4, 0, 1, s0
	v_cmp_ne_u32_e64 s0, v9, v23
	v_add_nc_u32_e32 v23, 0xfffffc10, v25
	v_and_b32_e32 v25, 7, v19
	s_delay_alu instid0(VALU_DEP_4)
	v_lshl_or_b32 v4, v4, 9, 0x7c00
	s_wait_alu 0xf1ff
	v_cndmask_b32_e64 v9, 0, 1, s0
	v_cmp_gt_i32_e64 s0, 31, v18
	v_cmp_gt_i32_e64 s2, 1, v23
	v_cmp_eq_u32_e64 s1, 3, v25
	s_delay_alu instid0(VALU_DEP_4) | instskip(SKIP_4) | instid1(VALU_DEP_3)
	v_or_b32_e32 v9, v22, v9
	v_lshl_or_b32 v22, v23, 12, v6
	s_wait_alu 0xf1ff
	v_cndmask_b32_e64 v17, 0x7c00, v17, s0
	v_cmp_lt_i32_e64 s0, 5, v25
	v_cndmask_b32_e64 v9, v22, v9, s2
	v_cmp_eq_u32_e64 s2, 0x40f, v18
	s_delay_alu instid0(VALU_DEP_3) | instskip(NEXT) | instid1(VALU_DEP_2)
	s_or_b32 s0, s1, s0
	v_and_b32_e32 v18, 7, v9
	s_delay_alu instid0(VALU_DEP_2)
	v_cndmask_b32_e64 v4, v17, v4, s2
	v_lshrrev_b32_e32 v17, 2, v19
	v_lshrrev_b32_e32 v9, 2, v9
	v_cmp_gt_i32_e64 s2, 31, v24
	v_cmp_eq_u32_e64 s1, 3, v18
	s_wait_alu 0xfffe
	v_add_co_ci_u32_e64 v17, s0, 0, v17, s0
	v_cmp_ne_u32_e64 s0, 0, v0
	s_wait_alu 0xf1ff
	s_delay_alu instid0(VALU_DEP_2) | instskip(NEXT) | instid1(VALU_DEP_2)
	v_cndmask_b32_e64 v17, 0x7c00, v17, s2
	v_cndmask_b32_e64 v0, 0, 1, s0
	v_cmp_lt_i32_e64 s0, 5, v18
	s_delay_alu instid0(VALU_DEP_2) | instskip(NEXT) | instid1(VALU_DEP_2)
	v_lshl_or_b32 v0, v0, 9, 0x7c00
	s_or_b32 s0, s1, s0
	s_wait_alu 0xfffe
	v_add_co_ci_u32_e64 v9, s0, 0, v9, s0
	v_cmp_ne_u32_e64 s0, 0, v6
	s_wait_alu 0xf1ff
	s_delay_alu instid0(VALU_DEP_1) | instskip(SKIP_1) | instid1(VALU_DEP_2)
	v_cndmask_b32_e64 v6, 0, 1, s0
	v_cmp_eq_u32_e64 s0, 0x40f, v24
	v_lshl_or_b32 v6, v6, 9, 0x7c00
	s_wait_alu 0xf1ff
	s_delay_alu instid0(VALU_DEP_2) | instskip(SKIP_2) | instid1(VALU_DEP_3)
	v_cndmask_b32_e64 v0, v17, v0, s0
	v_cmp_gt_i32_e64 s0, 31, v23
	v_and_or_b32 v17, 0x8000, v5, v4
	v_and_or_b32 v0, 0x8000, v1, v0
	s_wait_alu 0xf1ff
	s_delay_alu instid0(VALU_DEP_3) | instskip(SKIP_4) | instid1(VALU_DEP_3)
	v_cndmask_b32_e64 v9, 0x7c00, v9, s0
	v_cmp_eq_u32_e64 s0, 0x40f, v23
	v_lshl_or_b32 v8, v17, 16, v8
	v_and_b32_e32 v0, 0xffff, v0
	s_wait_alu 0xf1ff
	v_cndmask_b32_e64 v1, v9, v6, s0
	v_lshrrev_b32_e32 v6, 16, v7
	v_add_co_u32 v4, s0, v20, s6
	s_wait_alu 0xf1ff
	v_add_co_ci_u32_e64 v5, s0, s7, v21, s0
	s_delay_alu instid0(VALU_DEP_3) | instskip(NEXT) | instid1(VALU_DEP_3)
	v_and_or_b32 v1, 0x8000, v6, v1
	v_add_co_u32 v6, s0, v4, s6
	s_wait_alu 0xf1ff
	s_delay_alu instid0(VALU_DEP_3) | instskip(NEXT) | instid1(VALU_DEP_3)
	v_add_co_ci_u32_e64 v7, s0, s7, v5, s0
	v_lshl_or_b32 v9, v1, 16, v0
	s_delay_alu instid0(VALU_DEP_3) | instskip(SKIP_1) | instid1(VALU_DEP_3)
	v_add_co_u32 v0, s0, v6, s6
	s_wait_alu 0xf1ff
	v_add_co_ci_u32_e64 v1, s0, s7, v7, s0
	global_store_b32 v[10:11], v14, off
	global_store_b32 v[20:21], v27, off
	global_store_b32 v[4:5], v16, off
	global_store_b32 v[6:7], v8, off
	global_store_b32 v[0:1], v9, off
	s_and_b32 exec_lo, exec_lo, vcc_lo
	s_cbranch_execz .LBB0_15
; %bb.14:
	global_load_b32 v6, v[12:13], off offset:68
	ds_load_2addr_b32 v[4:5], v65 offset0:17 offset1:38
	v_mad_co_u64_u32 v[0:1], null, 0xfffffb04, s4, v[0:1]
	s_mul_u64 s[10:11], s[4:5], 0xa8
	s_wait_dscnt 0x0
	v_lshrrev_b32_e32 v7, 16, v4
	s_wait_loadcnt 0x0
	v_lshrrev_b32_e32 v8, 16, v6
	s_delay_alu instid0(VALU_DEP_1) | instskip(SKIP_1) | instid1(VALU_DEP_2)
	v_mul_f16_e32 v9, v7, v8
	v_mul_f16_e32 v8, v4, v8
	v_fmac_f16_e32 v9, v4, v6
	s_delay_alu instid0(VALU_DEP_2) | instskip(NEXT) | instid1(VALU_DEP_2)
	v_fma_f16 v4, v6, v7, -v8
	v_cvt_f32_f16_e32 v6, v9
	s_delay_alu instid0(VALU_DEP_2) | instskip(NEXT) | instid1(VALU_DEP_2)
	v_cvt_f32_f16_e32 v4, v4
	v_cvt_f64_f32_e32 v[6:7], v6
	s_delay_alu instid0(VALU_DEP_2) | instskip(NEXT) | instid1(VALU_DEP_2)
	v_cvt_f64_f32_e32 v[8:9], v4
	v_mul_f64_e32 v[6:7], s[8:9], v[6:7]
	s_delay_alu instid0(VALU_DEP_2) | instskip(NEXT) | instid1(VALU_DEP_2)
	v_mul_f64_e32 v[8:9], s[8:9], v[8:9]
	v_and_or_b32 v4, 0x1ff, v7, v6
	s_delay_alu instid0(VALU_DEP_2)
	v_and_or_b32 v8, 0x1ff, v9, v8
	v_lshrrev_b32_e32 v6, 8, v7
	v_bfe_u32 v10, v7, 20, 11
	v_lshrrev_b32_e32 v11, 8, v9
	v_cmp_ne_u32_e32 vcc_lo, 0, v4
	v_bfe_u32 v14, v9, 20, 11
	v_lshrrev_b32_e32 v7, 16, v7
	v_sub_nc_u32_e32 v16, 0x3f1, v10
	v_lshrrev_b32_e32 v9, 16, v9
	s_wait_alu 0xfffd
	v_cndmask_b32_e64 v4, 0, 1, vcc_lo
	v_cmp_ne_u32_e32 vcc_lo, 0, v8
	s_delay_alu instid0(VALU_DEP_2) | instskip(SKIP_4) | instid1(VALU_DEP_3)
	v_and_or_b32 v4, 0xffe, v6, v4
	s_wait_alu 0xfffd
	v_cndmask_b32_e64 v8, 0, 1, vcc_lo
	v_sub_nc_u32_e32 v6, 0x3f1, v14
	v_add_nc_u32_e32 v14, 0xfffffc10, v14
	v_and_or_b32 v8, 0xffe, v11, v8
	v_med3_i32 v11, v16, 0, 13
	v_or_b32_e32 v16, 0x1000, v4
	v_med3_i32 v6, v6, 0, 13
	s_delay_alu instid0(VALU_DEP_4) | instskip(NEXT) | instid1(VALU_DEP_3)
	v_or_b32_e32 v17, 0x1000, v8
	v_lshrrev_b32_e32 v18, v11, v16
	s_delay_alu instid0(VALU_DEP_2) | instskip(NEXT) | instid1(VALU_DEP_2)
	v_lshrrev_b32_e32 v19, v6, v17
	v_lshlrev_b32_e32 v11, v11, v18
	s_delay_alu instid0(VALU_DEP_2) | instskip(NEXT) | instid1(VALU_DEP_2)
	v_lshlrev_b32_e32 v6, v6, v19
	v_cmp_ne_u32_e32 vcc_lo, v11, v16
	s_wait_alu 0xfffd
	v_cndmask_b32_e64 v11, 0, 1, vcc_lo
	s_delay_alu instid0(VALU_DEP_3) | instskip(SKIP_1) | instid1(VALU_DEP_3)
	v_cmp_ne_u32_e32 vcc_lo, v6, v17
	v_lshl_or_b32 v17, v14, 12, v8
	v_or_b32_e32 v11, v18, v11
	v_add_nc_u32_e32 v10, 0xfffffc10, v10
	s_wait_alu 0xfffd
	v_cndmask_b32_e64 v6, 0, 1, vcc_lo
	s_delay_alu instid0(VALU_DEP_2) | instskip(SKIP_1) | instid1(VALU_DEP_3)
	v_lshl_or_b32 v16, v10, 12, v4
	v_cmp_gt_i32_e32 vcc_lo, 1, v10
	v_or_b32_e32 v6, v19, v6
	s_wait_alu 0xfffd
	s_delay_alu instid0(VALU_DEP_3) | instskip(SKIP_1) | instid1(VALU_DEP_2)
	v_cndmask_b32_e32 v11, v16, v11, vcc_lo
	v_cmp_gt_i32_e32 vcc_lo, 1, v14
	v_and_b32_e32 v16, 7, v11
	s_wait_alu 0xfffd
	v_cndmask_b32_e32 v6, v17, v6, vcc_lo
	v_cmp_ne_u32_e32 vcc_lo, 0, v4
	v_lshrrev_b32_e32 v11, 2, v11
	v_cmp_eq_u32_e64 s0, 3, v16
	s_wait_alu 0xfffd
	v_cndmask_b32_e64 v4, 0, 1, vcc_lo
	v_cmp_ne_u32_e32 vcc_lo, 0, v8
	s_delay_alu instid0(VALU_DEP_2) | instskip(SKIP_3) | instid1(VALU_DEP_2)
	v_lshl_or_b32 v4, v4, 9, 0x7c00
	s_wait_alu 0xfffd
	v_cndmask_b32_e64 v8, 0, 1, vcc_lo
	v_cmp_lt_i32_e32 vcc_lo, 5, v16
	v_lshl_or_b32 v8, v8, 9, 0x7c00
	s_or_b32 vcc_lo, s0, vcc_lo
	s_mul_i32 s0, s5, 0xfffffb04
	s_wait_alu 0xfffe
	v_add_co_ci_u32_e32 v11, vcc_lo, 0, v11, vcc_lo
	s_sub_co_i32 s0, s0, s4
	s_wait_alu 0xfffe
	v_add_nc_u32_e32 v1, s0, v1
	v_and_b32_e32 v17, 7, v6
	v_lshrrev_b32_e32 v6, 2, v6
	s_delay_alu instid0(VALU_DEP_2) | instskip(SKIP_1) | instid1(VALU_DEP_1)
	v_cmp_lt_i32_e64 s1, 5, v17
	v_cmp_eq_u32_e64 s2, 3, v17
	s_or_b32 vcc_lo, s2, s1
	s_wait_alu 0xfffe
	v_add_co_ci_u32_e32 v6, vcc_lo, 0, v6, vcc_lo
	v_cmp_gt_i32_e32 vcc_lo, 31, v10
	s_wait_alu 0xfffd
	v_cndmask_b32_e32 v11, 0x7c00, v11, vcc_lo
	v_cmp_gt_i32_e32 vcc_lo, 31, v14
	s_wait_alu 0xfffd
	v_cndmask_b32_e32 v6, 0x7c00, v6, vcc_lo
	v_cmp_eq_u32_e32 vcc_lo, 0x40f, v10
	s_wait_alu 0xfffd
	v_cndmask_b32_e32 v4, v11, v4, vcc_lo
	v_cmp_eq_u32_e32 vcc_lo, 0x40f, v14
	s_delay_alu instid0(VALU_DEP_2) | instskip(SKIP_2) | instid1(VALU_DEP_2)
	v_and_or_b32 v4, 0x8000, v7, v4
	s_wait_alu 0xfffd
	v_cndmask_b32_e32 v6, v6, v8, vcc_lo
	v_and_b32_e32 v4, 0xffff, v4
	s_delay_alu instid0(VALU_DEP_2) | instskip(NEXT) | instid1(VALU_DEP_1)
	v_and_or_b32 v6, 0x8000, v9, v6
	v_lshl_or_b32 v4, v6, 16, v4
	v_lshrrev_b32_e32 v6, 16, v5
	global_store_b32 v[0:1], v4, off
	global_load_b32 v4, v[12:13], off offset:152
	s_wait_loadcnt 0x0
	v_lshrrev_b32_e32 v7, 16, v4
	s_delay_alu instid0(VALU_DEP_1) | instskip(SKIP_1) | instid1(VALU_DEP_2)
	v_mul_f16_e32 v8, v6, v7
	v_mul_f16_e32 v7, v5, v7
	v_fmac_f16_e32 v8, v5, v4
	s_delay_alu instid0(VALU_DEP_2) | instskip(NEXT) | instid1(VALU_DEP_2)
	v_fma_f16 v4, v4, v6, -v7
	v_cvt_f32_f16_e32 v5, v8
	s_delay_alu instid0(VALU_DEP_2) | instskip(NEXT) | instid1(VALU_DEP_2)
	v_cvt_f32_f16_e32 v6, v4
	v_cvt_f64_f32_e32 v[4:5], v5
	s_delay_alu instid0(VALU_DEP_2) | instskip(NEXT) | instid1(VALU_DEP_2)
	v_cvt_f64_f32_e32 v[6:7], v6
	v_mul_f64_e32 v[4:5], s[8:9], v[4:5]
	s_delay_alu instid0(VALU_DEP_2) | instskip(NEXT) | instid1(VALU_DEP_2)
	v_mul_f64_e32 v[6:7], s[8:9], v[6:7]
	v_and_or_b32 v4, 0x1ff, v5, v4
	s_delay_alu instid0(VALU_DEP_2)
	v_and_or_b32 v6, 0x1ff, v7, v6
	v_lshrrev_b32_e32 v8, 8, v5
	v_bfe_u32 v9, v5, 20, 11
	v_lshrrev_b32_e32 v10, 8, v7
	v_cmp_ne_u32_e32 vcc_lo, 0, v4
	v_bfe_u32 v11, v7, 20, 11
	v_lshrrev_b32_e32 v5, 16, v5
	v_sub_nc_u32_e32 v14, 0x3f1, v9
	v_lshrrev_b32_e32 v7, 16, v7
	s_wait_alu 0xfffd
	v_cndmask_b32_e64 v4, 0, 1, vcc_lo
	v_cmp_ne_u32_e32 vcc_lo, 0, v6
	s_delay_alu instid0(VALU_DEP_2) | instskip(SKIP_3) | instid1(VALU_DEP_2)
	v_and_or_b32 v4, 0xffe, v8, v4
	s_wait_alu 0xfffd
	v_cndmask_b32_e64 v6, 0, 1, vcc_lo
	v_sub_nc_u32_e32 v8, 0x3f1, v11
	v_and_or_b32 v6, 0xffe, v10, v6
	v_med3_i32 v10, v14, 0, 13
	v_or_b32_e32 v14, 0x1000, v4
	s_delay_alu instid0(VALU_DEP_4) | instskip(NEXT) | instid1(VALU_DEP_4)
	v_med3_i32 v8, v8, 0, 13
	v_or_b32_e32 v16, 0x1000, v6
	s_delay_alu instid0(VALU_DEP_3) | instskip(NEXT) | instid1(VALU_DEP_2)
	v_lshrrev_b32_e32 v17, v10, v14
	v_lshrrev_b32_e32 v18, v8, v16
	s_delay_alu instid0(VALU_DEP_2) | instskip(NEXT) | instid1(VALU_DEP_2)
	v_lshlrev_b32_e32 v10, v10, v17
	v_lshlrev_b32_e32 v8, v8, v18
	s_delay_alu instid0(VALU_DEP_2) | instskip(SKIP_2) | instid1(VALU_DEP_3)
	v_cmp_ne_u32_e32 vcc_lo, v10, v14
	s_wait_alu 0xfffd
	v_cndmask_b32_e64 v10, 0, 1, vcc_lo
	v_cmp_ne_u32_e32 vcc_lo, v8, v16
	s_delay_alu instid0(VALU_DEP_2) | instskip(SKIP_3) | instid1(VALU_DEP_2)
	v_or_b32_e32 v10, v17, v10
	v_add_nc_u32_e32 v9, 0xfffffc10, v9
	s_wait_alu 0xfffd
	v_cndmask_b32_e64 v8, 0, 1, vcc_lo
	v_lshl_or_b32 v14, v9, 12, v4
	s_delay_alu instid0(VALU_DEP_2) | instskip(SKIP_2) | instid1(VALU_DEP_2)
	v_or_b32_e32 v8, v18, v8
	v_add_nc_u32_e32 v11, 0xfffffc10, v11
	v_cmp_gt_i32_e32 vcc_lo, 1, v9
	v_lshl_or_b32 v16, v11, 12, v6
	s_wait_alu 0xfffd
	v_cndmask_b32_e32 v10, v14, v10, vcc_lo
	v_cmp_gt_i32_e32 vcc_lo, 1, v11
	s_delay_alu instid0(VALU_DEP_2)
	v_and_b32_e32 v14, 7, v10
	s_wait_alu 0xfffd
	v_cndmask_b32_e32 v8, v16, v8, vcc_lo
	v_cmp_ne_u32_e32 vcc_lo, 0, v4
	v_lshrrev_b32_e32 v10, 2, v10
	v_cmp_eq_u32_e64 s0, 3, v14
	s_delay_alu instid0(VALU_DEP_4)
	v_and_b32_e32 v16, 7, v8
	s_wait_alu 0xfffd
	v_cndmask_b32_e64 v4, 0, 1, vcc_lo
	v_cmp_ne_u32_e32 vcc_lo, 0, v6
	v_lshrrev_b32_e32 v8, 2, v8
	v_cmp_lt_i32_e64 s1, 5, v16
	v_cmp_eq_u32_e64 s2, 3, v16
	s_wait_alu 0xfffd
	v_cndmask_b32_e64 v6, 0, 1, vcc_lo
	v_cmp_lt_i32_e32 vcc_lo, 5, v14
	v_lshl_or_b32 v4, v4, 9, 0x7c00
	s_delay_alu instid0(VALU_DEP_3)
	v_lshl_or_b32 v6, v6, 9, 0x7c00
	s_or_b32 vcc_lo, s0, vcc_lo
	s_wait_alu 0xfffe
	v_add_co_ci_u32_e32 v10, vcc_lo, 0, v10, vcc_lo
	s_or_b32 vcc_lo, s2, s1
	s_wait_alu 0xfffe
	v_add_co_ci_u32_e32 v8, vcc_lo, 0, v8, vcc_lo
	v_cmp_gt_i32_e32 vcc_lo, 31, v9
	s_wait_alu 0xfffd
	v_cndmask_b32_e32 v10, 0x7c00, v10, vcc_lo
	v_cmp_gt_i32_e32 vcc_lo, 31, v11
	s_wait_alu 0xfffd
	v_cndmask_b32_e32 v8, 0x7c00, v8, vcc_lo
	v_cmp_eq_u32_e32 vcc_lo, 0x40f, v9
	s_wait_alu 0xfffd
	v_cndmask_b32_e32 v4, v10, v4, vcc_lo
	v_cmp_eq_u32_e32 vcc_lo, 0x40f, v11
	s_delay_alu instid0(VALU_DEP_2)
	v_and_or_b32 v4, 0x8000, v5, v4
	s_wait_alu 0xfffd
	v_cndmask_b32_e32 v6, v8, v6, vcc_lo
	v_add_co_u32 v0, vcc_lo, v0, s6
	s_wait_alu 0xfffd
	v_add_co_ci_u32_e32 v1, vcc_lo, s7, v1, vcc_lo
	s_delay_alu instid0(VALU_DEP_3) | instskip(SKIP_1) | instid1(VALU_DEP_1)
	v_and_or_b32 v5, 0x8000, v7, v6
	v_and_b32_e32 v4, 0xffff, v4
	v_lshl_or_b32 v4, v5, 16, v4
	global_store_b32 v[0:1], v4, off
	global_load_b32 v6, v[12:13], off offset:236
	ds_load_2addr_b32 v[4:5], v65 offset0:59 offset1:80
	s_wait_dscnt 0x0
	v_lshrrev_b32_e32 v7, 16, v4
	s_wait_loadcnt 0x0
	v_lshrrev_b32_e32 v8, 16, v6
	s_delay_alu instid0(VALU_DEP_1) | instskip(SKIP_1) | instid1(VALU_DEP_2)
	v_mul_f16_e32 v9, v7, v8
	v_mul_f16_e32 v8, v4, v8
	v_fmac_f16_e32 v9, v4, v6
	s_delay_alu instid0(VALU_DEP_2) | instskip(NEXT) | instid1(VALU_DEP_2)
	v_fma_f16 v4, v6, v7, -v8
	v_cvt_f32_f16_e32 v6, v9
	s_delay_alu instid0(VALU_DEP_2) | instskip(NEXT) | instid1(VALU_DEP_2)
	v_cvt_f32_f16_e32 v4, v4
	v_cvt_f64_f32_e32 v[6:7], v6
	s_delay_alu instid0(VALU_DEP_2) | instskip(NEXT) | instid1(VALU_DEP_2)
	v_cvt_f64_f32_e32 v[8:9], v4
	v_mul_f64_e32 v[6:7], s[8:9], v[6:7]
	s_delay_alu instid0(VALU_DEP_2) | instskip(NEXT) | instid1(VALU_DEP_2)
	v_mul_f64_e32 v[8:9], s[8:9], v[8:9]
	v_and_or_b32 v4, 0x1ff, v7, v6
	s_delay_alu instid0(VALU_DEP_2)
	v_and_or_b32 v8, 0x1ff, v9, v8
	v_lshrrev_b32_e32 v6, 8, v7
	v_bfe_u32 v10, v7, 20, 11
	v_lshrrev_b32_e32 v11, 8, v9
	v_cmp_ne_u32_e32 vcc_lo, 0, v4
	v_bfe_u32 v14, v9, 20, 11
	v_lshrrev_b32_e32 v7, 16, v7
	v_sub_nc_u32_e32 v16, 0x3f1, v10
	v_add_nc_u32_e32 v10, 0xfffffc10, v10
	s_wait_alu 0xfffd
	v_cndmask_b32_e64 v4, 0, 1, vcc_lo
	v_cmp_ne_u32_e32 vcc_lo, 0, v8
	v_lshrrev_b32_e32 v9, 16, v9
	s_delay_alu instid0(VALU_DEP_3) | instskip(SKIP_4) | instid1(VALU_DEP_3)
	v_and_or_b32 v4, 0xffe, v6, v4
	s_wait_alu 0xfffd
	v_cndmask_b32_e64 v8, 0, 1, vcc_lo
	v_sub_nc_u32_e32 v6, 0x3f1, v14
	v_add_nc_u32_e32 v14, 0xfffffc10, v14
	v_and_or_b32 v8, 0xffe, v11, v8
	v_med3_i32 v11, v16, 0, 13
	v_or_b32_e32 v16, 0x1000, v4
	v_med3_i32 v6, v6, 0, 13
	s_delay_alu instid0(VALU_DEP_4) | instskip(NEXT) | instid1(VALU_DEP_3)
	v_or_b32_e32 v17, 0x1000, v8
	v_lshrrev_b32_e32 v18, v11, v16
	s_delay_alu instid0(VALU_DEP_2) | instskip(NEXT) | instid1(VALU_DEP_2)
	v_lshrrev_b32_e32 v19, v6, v17
	v_lshlrev_b32_e32 v11, v11, v18
	s_delay_alu instid0(VALU_DEP_2) | instskip(NEXT) | instid1(VALU_DEP_2)
	v_lshlrev_b32_e32 v6, v6, v19
	v_cmp_ne_u32_e32 vcc_lo, v11, v16
	v_lshl_or_b32 v16, v10, 12, v4
	s_wait_alu 0xfffd
	v_cndmask_b32_e64 v11, 0, 1, vcc_lo
	v_cmp_ne_u32_e32 vcc_lo, v6, v17
	v_lshl_or_b32 v17, v14, 12, v8
	s_delay_alu instid0(VALU_DEP_3) | instskip(SKIP_3) | instid1(VALU_DEP_2)
	v_or_b32_e32 v11, v18, v11
	s_wait_alu 0xfffd
	v_cndmask_b32_e64 v6, 0, 1, vcc_lo
	v_cmp_gt_i32_e32 vcc_lo, 1, v10
	v_or_b32_e32 v6, v19, v6
	s_wait_alu 0xfffd
	v_cndmask_b32_e32 v11, v16, v11, vcc_lo
	v_cmp_gt_i32_e32 vcc_lo, 1, v14
	s_delay_alu instid0(VALU_DEP_2)
	v_and_b32_e32 v16, 7, v11
	s_wait_alu 0xfffd
	v_cndmask_b32_e32 v6, v17, v6, vcc_lo
	v_cmp_ne_u32_e32 vcc_lo, 0, v4
	v_lshrrev_b32_e32 v11, 2, v11
	v_cmp_eq_u32_e64 s0, 3, v16
	s_delay_alu instid0(VALU_DEP_4)
	v_and_b32_e32 v17, 7, v6
	s_wait_alu 0xfffd
	v_cndmask_b32_e64 v4, 0, 1, vcc_lo
	v_cmp_ne_u32_e32 vcc_lo, 0, v8
	v_lshrrev_b32_e32 v6, 2, v6
	v_cmp_lt_i32_e64 s1, 5, v17
	v_cmp_eq_u32_e64 s2, 3, v17
	s_wait_alu 0xfffd
	v_cndmask_b32_e64 v8, 0, 1, vcc_lo
	v_cmp_lt_i32_e32 vcc_lo, 5, v16
	v_lshl_or_b32 v4, v4, 9, 0x7c00
	s_delay_alu instid0(VALU_DEP_3)
	v_lshl_or_b32 v8, v8, 9, 0x7c00
	s_or_b32 vcc_lo, s0, vcc_lo
	s_wait_alu 0xfffe
	v_add_co_ci_u32_e32 v11, vcc_lo, 0, v11, vcc_lo
	s_or_b32 vcc_lo, s2, s1
	s_wait_alu 0xfffe
	v_add_co_ci_u32_e32 v6, vcc_lo, 0, v6, vcc_lo
	v_cmp_gt_i32_e32 vcc_lo, 31, v10
	s_wait_alu 0xfffd
	v_cndmask_b32_e32 v11, 0x7c00, v11, vcc_lo
	v_cmp_gt_i32_e32 vcc_lo, 31, v14
	s_wait_alu 0xfffd
	v_cndmask_b32_e32 v6, 0x7c00, v6, vcc_lo
	v_cmp_eq_u32_e32 vcc_lo, 0x40f, v10
	s_wait_alu 0xfffd
	v_cndmask_b32_e32 v4, v11, v4, vcc_lo
	v_cmp_eq_u32_e32 vcc_lo, 0x40f, v14
	s_delay_alu instid0(VALU_DEP_2)
	v_and_or_b32 v4, 0x8000, v7, v4
	s_wait_alu 0xfffd
	v_cndmask_b32_e32 v6, v6, v8, vcc_lo
	v_add_co_u32 v0, vcc_lo, v0, s6
	s_wait_alu 0xfffd
	v_add_co_ci_u32_e32 v1, vcc_lo, s7, v1, vcc_lo
	s_delay_alu instid0(VALU_DEP_3) | instskip(SKIP_1) | instid1(VALU_DEP_1)
	v_and_or_b32 v6, 0x8000, v9, v6
	v_and_b32_e32 v4, 0xffff, v4
	v_lshl_or_b32 v4, v6, 16, v4
	v_lshrrev_b32_e32 v6, 16, v5
	global_store_b32 v[0:1], v4, off
	global_load_b32 v4, v[12:13], off offset:320
	s_wait_loadcnt 0x0
	v_lshrrev_b32_e32 v7, 16, v4
	s_delay_alu instid0(VALU_DEP_1) | instskip(SKIP_1) | instid1(VALU_DEP_2)
	v_mul_f16_e32 v8, v6, v7
	v_mul_f16_e32 v7, v5, v7
	v_fmac_f16_e32 v8, v5, v4
	s_delay_alu instid0(VALU_DEP_2) | instskip(NEXT) | instid1(VALU_DEP_2)
	v_fma_f16 v4, v4, v6, -v7
	v_cvt_f32_f16_e32 v5, v8
	s_delay_alu instid0(VALU_DEP_2) | instskip(NEXT) | instid1(VALU_DEP_2)
	v_cvt_f32_f16_e32 v6, v4
	v_cvt_f64_f32_e32 v[4:5], v5
	s_delay_alu instid0(VALU_DEP_2) | instskip(NEXT) | instid1(VALU_DEP_2)
	v_cvt_f64_f32_e32 v[6:7], v6
	v_mul_f64_e32 v[4:5], s[8:9], v[4:5]
	s_delay_alu instid0(VALU_DEP_2) | instskip(NEXT) | instid1(VALU_DEP_2)
	v_mul_f64_e32 v[6:7], s[8:9], v[6:7]
	v_and_or_b32 v4, 0x1ff, v5, v4
	s_delay_alu instid0(VALU_DEP_2)
	v_and_or_b32 v6, 0x1ff, v7, v6
	v_lshrrev_b32_e32 v8, 8, v5
	v_bfe_u32 v10, v5, 20, 11
	v_bfe_u32 v11, v7, 20, 11
	v_cmp_ne_u32_e32 vcc_lo, 0, v4
	v_lshrrev_b32_e32 v9, 8, v7
	v_lshrrev_b32_e32 v7, 16, v7
	v_sub_nc_u32_e32 v14, 0x3f1, v10
	v_sub_nc_u32_e32 v16, 0x3f1, v11
	s_wait_alu 0xfffd
	v_cndmask_b32_e64 v4, 0, 1, vcc_lo
	v_cmp_ne_u32_e32 vcc_lo, 0, v6
	v_add_nc_u32_e32 v11, 0xfffffc10, v11
	s_delay_alu instid0(VALU_DEP_3)
	v_and_or_b32 v17, 0xffe, v8, v4
	s_wait_alu 0xfffd
	v_cndmask_b32_e64 v6, 0, 1, vcc_lo
	v_med3_i32 v4, v14, 0, 13
	v_med3_i32 v14, v16, 0, 13
	v_or_b32_e32 v16, 0x1000, v17
	s_delay_alu instid0(VALU_DEP_4) | instskip(SKIP_1) | instid1(VALU_DEP_3)
	v_and_or_b32 v6, 0xffe, v9, v6
	v_mad_co_u64_u32 v[8:9], null, s4, v97, 0
	v_lshrrev_b32_e32 v19, v4, v16
	s_delay_alu instid0(VALU_DEP_3) | instskip(NEXT) | instid1(VALU_DEP_2)
	v_or_b32_e32 v18, 0x1000, v6
	v_lshlrev_b32_e32 v21, v4, v19
	s_delay_alu instid0(VALU_DEP_2) | instskip(SKIP_1) | instid1(VALU_DEP_3)
	v_lshrrev_b32_e32 v20, v14, v18
	v_mov_b32_e32 v4, v9
	v_cmp_ne_u32_e32 vcc_lo, v21, v16
	s_delay_alu instid0(VALU_DEP_3) | instskip(SKIP_3) | instid1(VALU_DEP_3)
	v_lshlrev_b32_e32 v9, v14, v20
	v_add_nc_u32_e32 v14, 0xfffffc10, v10
	s_wait_alu 0xfffd
	v_cndmask_b32_e64 v16, 0, 1, vcc_lo
	v_cmp_ne_u32_e32 vcc_lo, v9, v18
	v_mad_co_u64_u32 v[9:10], null, s5, v97, v[4:5]
	v_lshl_or_b32 v4, v14, 12, v17
	s_delay_alu instid0(VALU_DEP_4)
	v_or_b32_e32 v10, v19, v16
	s_wait_alu 0xfffd
	v_cndmask_b32_e64 v18, 0, 1, vcc_lo
	v_cmp_gt_i32_e32 vcc_lo, 1, v14
	v_lshl_or_b32 v16, v11, 12, v6
	v_lshrrev_b32_e32 v5, 16, v5
	s_delay_alu instid0(VALU_DEP_4)
	v_or_b32_e32 v18, v20, v18
	s_wait_alu 0xfffd
	v_cndmask_b32_e32 v4, v4, v10, vcc_lo
	v_cmp_gt_i32_e32 vcc_lo, 1, v11
	s_wait_alu 0xfffd
	v_cndmask_b32_e32 v10, v16, v18, vcc_lo
	v_cmp_ne_u32_e32 vcc_lo, 0, v17
	v_and_b32_e32 v17, 7, v4
	v_lshrrev_b32_e32 v4, 2, v4
	s_delay_alu instid0(VALU_DEP_4)
	v_and_b32_e32 v18, 7, v10
	s_wait_alu 0xfffd
	v_cndmask_b32_e64 v16, 0, 1, vcc_lo
	v_cmp_ne_u32_e32 vcc_lo, 0, v6
	v_cmp_eq_u32_e64 s0, 3, v17
	v_lshrrev_b32_e32 v10, 2, v10
	v_cmp_lt_i32_e64 s1, 5, v18
	v_cmp_eq_u32_e64 s2, 3, v18
	s_wait_alu 0xfffd
	v_cndmask_b32_e64 v6, 0, 1, vcc_lo
	v_cmp_lt_i32_e32 vcc_lo, 5, v17
	v_lshl_or_b32 v16, v16, 9, 0x7c00
	s_delay_alu instid0(VALU_DEP_3)
	v_lshl_or_b32 v6, v6, 9, 0x7c00
	s_or_b32 vcc_lo, s0, vcc_lo
	s_wait_alu 0xfffe
	v_add_co_ci_u32_e32 v4, vcc_lo, 0, v4, vcc_lo
	s_or_b32 vcc_lo, s2, s1
	s_wait_alu 0xfffe
	v_add_co_ci_u32_e32 v10, vcc_lo, 0, v10, vcc_lo
	v_cmp_gt_i32_e32 vcc_lo, 31, v14
	s_wait_alu 0xfffd
	v_cndmask_b32_e32 v4, 0x7c00, v4, vcc_lo
	v_cmp_gt_i32_e32 vcc_lo, 31, v11
	s_wait_alu 0xfffd
	v_cndmask_b32_e32 v10, 0x7c00, v10, vcc_lo
	v_cmp_eq_u32_e32 vcc_lo, 0x40f, v14
	s_wait_alu 0xfffd
	v_cndmask_b32_e32 v4, v4, v16, vcc_lo
	v_cmp_eq_u32_e32 vcc_lo, 0x40f, v11
	s_wait_alu 0xfffd
	v_cndmask_b32_e32 v6, v10, v6, vcc_lo
	s_delay_alu instid0(VALU_DEP_3) | instskip(SKIP_1) | instid1(VALU_DEP_3)
	v_and_or_b32 v10, 0x8000, v5, v4
	v_lshlrev_b64_e32 v[4:5], 2, v[8:9]
	v_and_or_b32 v6, 0x8000, v7, v6
	s_delay_alu instid0(VALU_DEP_3) | instskip(NEXT) | instid1(VALU_DEP_3)
	v_and_b32_e32 v7, 0xffff, v10
	v_add_co_u32 v4, vcc_lo, v2, v4
	s_wait_alu 0xfffd
	s_delay_alu instid0(VALU_DEP_4) | instskip(NEXT) | instid1(VALU_DEP_3)
	v_add_co_ci_u32_e32 v5, vcc_lo, v3, v5, vcc_lo
	v_lshl_or_b32 v6, v6, 16, v7
	global_store_b32 v[4:5], v6, off
	global_load_b32 v6, v[12:13], off offset:404
	ds_load_2addr_b32 v[4:5], v65 offset0:101 offset1:122
	s_wait_dscnt 0x0
	v_lshrrev_b32_e32 v7, 16, v4
	s_wait_loadcnt 0x0
	v_lshrrev_b32_e32 v8, 16, v6
	s_delay_alu instid0(VALU_DEP_1) | instskip(SKIP_1) | instid1(VALU_DEP_2)
	v_mul_f16_e32 v9, v7, v8
	v_mul_f16_e32 v8, v4, v8
	v_fmac_f16_e32 v9, v4, v6
	s_delay_alu instid0(VALU_DEP_2) | instskip(NEXT) | instid1(VALU_DEP_2)
	v_fma_f16 v4, v6, v7, -v8
	v_cvt_f32_f16_e32 v6, v9
	s_delay_alu instid0(VALU_DEP_2) | instskip(NEXT) | instid1(VALU_DEP_2)
	v_cvt_f32_f16_e32 v4, v4
	v_cvt_f64_f32_e32 v[6:7], v6
	s_delay_alu instid0(VALU_DEP_2) | instskip(NEXT) | instid1(VALU_DEP_2)
	v_cvt_f64_f32_e32 v[8:9], v4
	v_mul_f64_e32 v[6:7], s[8:9], v[6:7]
	s_delay_alu instid0(VALU_DEP_2) | instskip(NEXT) | instid1(VALU_DEP_2)
	v_mul_f64_e32 v[8:9], s[8:9], v[8:9]
	v_and_or_b32 v4, 0x1ff, v7, v6
	s_delay_alu instid0(VALU_DEP_2)
	v_and_or_b32 v8, 0x1ff, v9, v8
	v_lshrrev_b32_e32 v6, 8, v7
	v_bfe_u32 v10, v7, 20, 11
	v_lshrrev_b32_e32 v11, 8, v9
	v_cmp_ne_u32_e32 vcc_lo, 0, v4
	v_bfe_u32 v14, v9, 20, 11
	v_lshrrev_b32_e32 v7, 16, v7
	v_sub_nc_u32_e32 v16, 0x3f1, v10
	v_add_nc_u32_e32 v10, 0xfffffc10, v10
	s_wait_alu 0xfffd
	v_cndmask_b32_e64 v4, 0, 1, vcc_lo
	v_cmp_ne_u32_e32 vcc_lo, 0, v8
	v_lshrrev_b32_e32 v9, 16, v9
	s_delay_alu instid0(VALU_DEP_3) | instskip(SKIP_4) | instid1(VALU_DEP_3)
	v_and_or_b32 v4, 0xffe, v6, v4
	s_wait_alu 0xfffd
	v_cndmask_b32_e64 v8, 0, 1, vcc_lo
	v_sub_nc_u32_e32 v6, 0x3f1, v14
	v_add_nc_u32_e32 v14, 0xfffffc10, v14
	v_and_or_b32 v8, 0xffe, v11, v8
	v_med3_i32 v11, v16, 0, 13
	v_or_b32_e32 v16, 0x1000, v4
	v_med3_i32 v6, v6, 0, 13
	s_delay_alu instid0(VALU_DEP_4) | instskip(NEXT) | instid1(VALU_DEP_3)
	v_or_b32_e32 v17, 0x1000, v8
	v_lshrrev_b32_e32 v18, v11, v16
	s_delay_alu instid0(VALU_DEP_2) | instskip(NEXT) | instid1(VALU_DEP_2)
	v_lshrrev_b32_e32 v19, v6, v17
	v_lshlrev_b32_e32 v11, v11, v18
	s_delay_alu instid0(VALU_DEP_2) | instskip(NEXT) | instid1(VALU_DEP_2)
	v_lshlrev_b32_e32 v6, v6, v19
	v_cmp_ne_u32_e32 vcc_lo, v11, v16
	v_lshl_or_b32 v16, v10, 12, v4
	s_wait_alu 0xfffd
	v_cndmask_b32_e64 v11, 0, 1, vcc_lo
	v_cmp_ne_u32_e32 vcc_lo, v6, v17
	v_lshl_or_b32 v17, v14, 12, v8
	s_delay_alu instid0(VALU_DEP_3) | instskip(SKIP_3) | instid1(VALU_DEP_2)
	v_or_b32_e32 v11, v18, v11
	s_wait_alu 0xfffd
	v_cndmask_b32_e64 v6, 0, 1, vcc_lo
	v_cmp_gt_i32_e32 vcc_lo, 1, v10
	v_or_b32_e32 v6, v19, v6
	s_wait_alu 0xfffd
	v_cndmask_b32_e32 v11, v16, v11, vcc_lo
	v_cmp_gt_i32_e32 vcc_lo, 1, v14
	s_delay_alu instid0(VALU_DEP_2)
	v_and_b32_e32 v16, 7, v11
	s_wait_alu 0xfffd
	v_cndmask_b32_e32 v6, v17, v6, vcc_lo
	v_cmp_ne_u32_e32 vcc_lo, 0, v4
	v_lshrrev_b32_e32 v11, 2, v11
	v_cmp_eq_u32_e64 s0, 3, v16
	s_delay_alu instid0(VALU_DEP_4)
	v_and_b32_e32 v17, 7, v6
	s_wait_alu 0xfffd
	v_cndmask_b32_e64 v4, 0, 1, vcc_lo
	v_cmp_ne_u32_e32 vcc_lo, 0, v8
	v_lshrrev_b32_e32 v6, 2, v6
	v_cmp_lt_i32_e64 s1, 5, v17
	v_cmp_eq_u32_e64 s2, 3, v17
	s_wait_alu 0xfffd
	v_cndmask_b32_e64 v8, 0, 1, vcc_lo
	v_cmp_lt_i32_e32 vcc_lo, 5, v16
	v_lshl_or_b32 v4, v4, 9, 0x7c00
	s_delay_alu instid0(VALU_DEP_3)
	v_lshl_or_b32 v8, v8, 9, 0x7c00
	s_or_b32 vcc_lo, s0, vcc_lo
	s_wait_alu 0xfffe
	v_add_co_ci_u32_e32 v11, vcc_lo, 0, v11, vcc_lo
	s_or_b32 vcc_lo, s2, s1
	s_wait_alu 0xfffe
	v_add_co_ci_u32_e32 v6, vcc_lo, 0, v6, vcc_lo
	v_cmp_gt_i32_e32 vcc_lo, 31, v10
	s_wait_alu 0xfffd
	v_cndmask_b32_e32 v11, 0x7c00, v11, vcc_lo
	v_cmp_gt_i32_e32 vcc_lo, 31, v14
	s_wait_alu 0xfffd
	v_cndmask_b32_e32 v6, 0x7c00, v6, vcc_lo
	v_cmp_eq_u32_e32 vcc_lo, 0x40f, v10
	s_wait_alu 0xfffd
	v_cndmask_b32_e32 v4, v11, v4, vcc_lo
	v_cmp_eq_u32_e32 vcc_lo, 0x40f, v14
	s_delay_alu instid0(VALU_DEP_2)
	v_and_or_b32 v4, 0x8000, v7, v4
	s_wait_alu 0xfffd
	v_cndmask_b32_e32 v6, v6, v8, vcc_lo
	v_add_co_u32 v0, vcc_lo, v0, s10
	s_wait_alu 0xfffd
	v_add_co_ci_u32_e32 v1, vcc_lo, s11, v1, vcc_lo
	s_delay_alu instid0(VALU_DEP_3) | instskip(SKIP_1) | instid1(VALU_DEP_1)
	v_and_or_b32 v6, 0x8000, v9, v6
	v_and_b32_e32 v4, 0xffff, v4
	v_lshl_or_b32 v4, v6, 16, v4
	v_lshrrev_b32_e32 v6, 16, v5
	global_store_b32 v[0:1], v4, off
	global_load_b32 v4, v[12:13], off offset:488
	s_wait_loadcnt 0x0
	v_lshrrev_b32_e32 v7, 16, v4
	s_delay_alu instid0(VALU_DEP_1) | instskip(SKIP_1) | instid1(VALU_DEP_2)
	v_mul_f16_e32 v8, v6, v7
	v_mul_f16_e32 v7, v5, v7
	v_fmac_f16_e32 v8, v5, v4
	s_delay_alu instid0(VALU_DEP_2) | instskip(NEXT) | instid1(VALU_DEP_2)
	v_fma_f16 v4, v4, v6, -v7
	v_cvt_f32_f16_e32 v5, v8
	s_delay_alu instid0(VALU_DEP_2) | instskip(NEXT) | instid1(VALU_DEP_2)
	v_cvt_f32_f16_e32 v6, v4
	v_cvt_f64_f32_e32 v[4:5], v5
	s_delay_alu instid0(VALU_DEP_2) | instskip(NEXT) | instid1(VALU_DEP_2)
	v_cvt_f64_f32_e32 v[6:7], v6
	v_mul_f64_e32 v[4:5], s[8:9], v[4:5]
	s_delay_alu instid0(VALU_DEP_2) | instskip(NEXT) | instid1(VALU_DEP_2)
	v_mul_f64_e32 v[6:7], s[8:9], v[6:7]
	v_and_or_b32 v4, 0x1ff, v5, v4
	s_delay_alu instid0(VALU_DEP_2)
	v_and_or_b32 v6, 0x1ff, v7, v6
	v_lshrrev_b32_e32 v8, 8, v5
	v_bfe_u32 v9, v5, 20, 11
	v_lshrrev_b32_e32 v10, 8, v7
	v_cmp_ne_u32_e32 vcc_lo, 0, v4
	v_bfe_u32 v11, v7, 20, 11
	v_lshrrev_b32_e32 v5, 16, v5
	v_sub_nc_u32_e32 v14, 0x3f1, v9
	v_add_nc_u32_e32 v9, 0xfffffc10, v9
	s_wait_alu 0xfffd
	v_cndmask_b32_e64 v4, 0, 1, vcc_lo
	v_cmp_ne_u32_e32 vcc_lo, 0, v6
	v_lshrrev_b32_e32 v7, 16, v7
	s_delay_alu instid0(VALU_DEP_3) | instskip(SKIP_4) | instid1(VALU_DEP_3)
	v_and_or_b32 v4, 0xffe, v8, v4
	s_wait_alu 0xfffd
	v_cndmask_b32_e64 v6, 0, 1, vcc_lo
	v_sub_nc_u32_e32 v8, 0x3f1, v11
	v_add_nc_u32_e32 v11, 0xfffffc10, v11
	v_and_or_b32 v6, 0xffe, v10, v6
	v_med3_i32 v10, v14, 0, 13
	v_or_b32_e32 v14, 0x1000, v4
	v_med3_i32 v8, v8, 0, 13
	s_delay_alu instid0(VALU_DEP_4) | instskip(NEXT) | instid1(VALU_DEP_3)
	v_or_b32_e32 v16, 0x1000, v6
	v_lshrrev_b32_e32 v17, v10, v14
	s_delay_alu instid0(VALU_DEP_2) | instskip(NEXT) | instid1(VALU_DEP_2)
	v_lshrrev_b32_e32 v18, v8, v16
	v_lshlrev_b32_e32 v10, v10, v17
	s_delay_alu instid0(VALU_DEP_2) | instskip(NEXT) | instid1(VALU_DEP_2)
	v_lshlrev_b32_e32 v8, v8, v18
	v_cmp_ne_u32_e32 vcc_lo, v10, v14
	v_lshl_or_b32 v14, v9, 12, v4
	s_wait_alu 0xfffd
	v_cndmask_b32_e64 v10, 0, 1, vcc_lo
	v_cmp_ne_u32_e32 vcc_lo, v8, v16
	v_lshl_or_b32 v16, v11, 12, v6
	s_delay_alu instid0(VALU_DEP_3) | instskip(SKIP_3) | instid1(VALU_DEP_2)
	v_or_b32_e32 v10, v17, v10
	s_wait_alu 0xfffd
	v_cndmask_b32_e64 v8, 0, 1, vcc_lo
	v_cmp_gt_i32_e32 vcc_lo, 1, v9
	v_or_b32_e32 v8, v18, v8
	s_wait_alu 0xfffd
	v_cndmask_b32_e32 v10, v14, v10, vcc_lo
	v_cmp_gt_i32_e32 vcc_lo, 1, v11
	s_delay_alu instid0(VALU_DEP_2)
	v_and_b32_e32 v14, 7, v10
	s_wait_alu 0xfffd
	v_cndmask_b32_e32 v8, v16, v8, vcc_lo
	v_cmp_ne_u32_e32 vcc_lo, 0, v4
	v_lshrrev_b32_e32 v10, 2, v10
	v_cmp_eq_u32_e64 s0, 3, v14
	s_delay_alu instid0(VALU_DEP_4)
	v_and_b32_e32 v16, 7, v8
	s_wait_alu 0xfffd
	v_cndmask_b32_e64 v4, 0, 1, vcc_lo
	v_cmp_ne_u32_e32 vcc_lo, 0, v6
	v_lshrrev_b32_e32 v8, 2, v8
	v_cmp_lt_i32_e64 s1, 5, v16
	v_cmp_eq_u32_e64 s2, 3, v16
	s_wait_alu 0xfffd
	v_cndmask_b32_e64 v6, 0, 1, vcc_lo
	v_cmp_lt_i32_e32 vcc_lo, 5, v14
	v_lshl_or_b32 v4, v4, 9, 0x7c00
	s_delay_alu instid0(VALU_DEP_3)
	v_lshl_or_b32 v6, v6, 9, 0x7c00
	s_or_b32 vcc_lo, s0, vcc_lo
	s_wait_alu 0xfffe
	v_add_co_ci_u32_e32 v10, vcc_lo, 0, v10, vcc_lo
	s_or_b32 vcc_lo, s2, s1
	s_wait_alu 0xfffe
	v_add_co_ci_u32_e32 v8, vcc_lo, 0, v8, vcc_lo
	v_cmp_gt_i32_e32 vcc_lo, 31, v9
	s_wait_alu 0xfffd
	v_cndmask_b32_e32 v10, 0x7c00, v10, vcc_lo
	v_cmp_gt_i32_e32 vcc_lo, 31, v11
	s_wait_alu 0xfffd
	v_cndmask_b32_e32 v8, 0x7c00, v8, vcc_lo
	v_cmp_eq_u32_e32 vcc_lo, 0x40f, v9
	s_wait_alu 0xfffd
	v_cndmask_b32_e32 v4, v10, v4, vcc_lo
	v_cmp_eq_u32_e32 vcc_lo, 0x40f, v11
	s_delay_alu instid0(VALU_DEP_2)
	v_and_or_b32 v4, 0x8000, v5, v4
	s_wait_alu 0xfffd
	v_cndmask_b32_e32 v6, v8, v6, vcc_lo
	v_add_co_u32 v0, vcc_lo, v0, s6
	s_wait_alu 0xfffd
	v_add_co_ci_u32_e32 v1, vcc_lo, s7, v1, vcc_lo
	s_delay_alu instid0(VALU_DEP_3) | instskip(SKIP_1) | instid1(VALU_DEP_1)
	v_and_or_b32 v5, 0x8000, v7, v6
	v_and_b32_e32 v4, 0xffff, v4
	v_lshl_or_b32 v4, v5, 16, v4
	global_store_b32 v[0:1], v4, off
	global_load_b32 v6, v[12:13], off offset:572
	ds_load_2addr_b32 v[4:5], v65 offset0:143 offset1:164
	s_wait_dscnt 0x0
	v_lshrrev_b32_e32 v7, 16, v4
	s_wait_loadcnt 0x0
	v_lshrrev_b32_e32 v8, 16, v6
	s_delay_alu instid0(VALU_DEP_1) | instskip(SKIP_1) | instid1(VALU_DEP_2)
	v_mul_f16_e32 v9, v7, v8
	v_mul_f16_e32 v8, v4, v8
	v_fmac_f16_e32 v9, v4, v6
	s_delay_alu instid0(VALU_DEP_2) | instskip(NEXT) | instid1(VALU_DEP_2)
	v_fma_f16 v4, v6, v7, -v8
	v_cvt_f32_f16_e32 v6, v9
	s_delay_alu instid0(VALU_DEP_2) | instskip(NEXT) | instid1(VALU_DEP_2)
	v_cvt_f32_f16_e32 v4, v4
	v_cvt_f64_f32_e32 v[6:7], v6
	s_delay_alu instid0(VALU_DEP_2) | instskip(NEXT) | instid1(VALU_DEP_2)
	v_cvt_f64_f32_e32 v[8:9], v4
	v_mul_f64_e32 v[6:7], s[8:9], v[6:7]
	s_delay_alu instid0(VALU_DEP_2) | instskip(NEXT) | instid1(VALU_DEP_2)
	v_mul_f64_e32 v[8:9], s[8:9], v[8:9]
	v_and_or_b32 v4, 0x1ff, v7, v6
	s_delay_alu instid0(VALU_DEP_2)
	v_and_or_b32 v8, 0x1ff, v9, v8
	v_lshrrev_b32_e32 v6, 8, v7
	v_bfe_u32 v10, v7, 20, 11
	v_lshrrev_b32_e32 v11, 8, v9
	v_cmp_ne_u32_e32 vcc_lo, 0, v4
	v_bfe_u32 v14, v9, 20, 11
	v_lshrrev_b32_e32 v7, 16, v7
	v_sub_nc_u32_e32 v16, 0x3f1, v10
	v_add_nc_u32_e32 v10, 0xfffffc10, v10
	s_wait_alu 0xfffd
	v_cndmask_b32_e64 v4, 0, 1, vcc_lo
	v_cmp_ne_u32_e32 vcc_lo, 0, v8
	v_lshrrev_b32_e32 v9, 16, v9
	s_delay_alu instid0(VALU_DEP_3) | instskip(SKIP_4) | instid1(VALU_DEP_3)
	v_and_or_b32 v4, 0xffe, v6, v4
	s_wait_alu 0xfffd
	v_cndmask_b32_e64 v8, 0, 1, vcc_lo
	v_sub_nc_u32_e32 v6, 0x3f1, v14
	v_add_nc_u32_e32 v14, 0xfffffc10, v14
	v_and_or_b32 v8, 0xffe, v11, v8
	v_med3_i32 v11, v16, 0, 13
	v_or_b32_e32 v16, 0x1000, v4
	v_med3_i32 v6, v6, 0, 13
	s_delay_alu instid0(VALU_DEP_4) | instskip(NEXT) | instid1(VALU_DEP_3)
	v_or_b32_e32 v17, 0x1000, v8
	v_lshrrev_b32_e32 v18, v11, v16
	s_delay_alu instid0(VALU_DEP_2) | instskip(NEXT) | instid1(VALU_DEP_2)
	v_lshrrev_b32_e32 v19, v6, v17
	v_lshlrev_b32_e32 v11, v11, v18
	s_delay_alu instid0(VALU_DEP_2) | instskip(NEXT) | instid1(VALU_DEP_2)
	v_lshlrev_b32_e32 v6, v6, v19
	v_cmp_ne_u32_e32 vcc_lo, v11, v16
	v_lshl_or_b32 v16, v10, 12, v4
	s_wait_alu 0xfffd
	v_cndmask_b32_e64 v11, 0, 1, vcc_lo
	v_cmp_ne_u32_e32 vcc_lo, v6, v17
	v_lshl_or_b32 v17, v14, 12, v8
	s_delay_alu instid0(VALU_DEP_3) | instskip(SKIP_3) | instid1(VALU_DEP_2)
	v_or_b32_e32 v11, v18, v11
	s_wait_alu 0xfffd
	v_cndmask_b32_e64 v6, 0, 1, vcc_lo
	v_cmp_gt_i32_e32 vcc_lo, 1, v10
	v_or_b32_e32 v6, v19, v6
	s_wait_alu 0xfffd
	v_cndmask_b32_e32 v11, v16, v11, vcc_lo
	v_cmp_gt_i32_e32 vcc_lo, 1, v14
	s_delay_alu instid0(VALU_DEP_2)
	v_and_b32_e32 v16, 7, v11
	s_wait_alu 0xfffd
	v_cndmask_b32_e32 v6, v17, v6, vcc_lo
	v_cmp_ne_u32_e32 vcc_lo, 0, v4
	v_lshrrev_b32_e32 v11, 2, v11
	v_cmp_eq_u32_e64 s0, 3, v16
	s_delay_alu instid0(VALU_DEP_4)
	v_and_b32_e32 v17, 7, v6
	s_wait_alu 0xfffd
	v_cndmask_b32_e64 v4, 0, 1, vcc_lo
	v_cmp_ne_u32_e32 vcc_lo, 0, v8
	v_lshrrev_b32_e32 v6, 2, v6
	v_cmp_lt_i32_e64 s1, 5, v17
	v_cmp_eq_u32_e64 s2, 3, v17
	s_wait_alu 0xfffd
	v_cndmask_b32_e64 v8, 0, 1, vcc_lo
	v_cmp_lt_i32_e32 vcc_lo, 5, v16
	v_lshl_or_b32 v4, v4, 9, 0x7c00
	s_delay_alu instid0(VALU_DEP_3)
	v_lshl_or_b32 v8, v8, 9, 0x7c00
	s_or_b32 vcc_lo, s0, vcc_lo
	s_wait_alu 0xfffe
	v_add_co_ci_u32_e32 v11, vcc_lo, 0, v11, vcc_lo
	s_or_b32 vcc_lo, s2, s1
	s_wait_alu 0xfffe
	v_add_co_ci_u32_e32 v6, vcc_lo, 0, v6, vcc_lo
	v_cmp_gt_i32_e32 vcc_lo, 31, v10
	s_wait_alu 0xfffd
	v_cndmask_b32_e32 v11, 0x7c00, v11, vcc_lo
	v_cmp_gt_i32_e32 vcc_lo, 31, v14
	s_wait_alu 0xfffd
	v_cndmask_b32_e32 v6, 0x7c00, v6, vcc_lo
	v_cmp_eq_u32_e32 vcc_lo, 0x40f, v10
	s_wait_alu 0xfffd
	v_cndmask_b32_e32 v4, v11, v4, vcc_lo
	v_cmp_eq_u32_e32 vcc_lo, 0x40f, v14
	s_delay_alu instid0(VALU_DEP_2)
	v_and_or_b32 v4, 0x8000, v7, v4
	s_wait_alu 0xfffd
	v_cndmask_b32_e32 v6, v6, v8, vcc_lo
	v_add_co_u32 v0, vcc_lo, v0, s6
	s_wait_alu 0xfffd
	v_add_co_ci_u32_e32 v1, vcc_lo, s7, v1, vcc_lo
	s_delay_alu instid0(VALU_DEP_3) | instskip(SKIP_1) | instid1(VALU_DEP_1)
	v_and_or_b32 v6, 0x8000, v9, v6
	v_and_b32_e32 v4, 0xffff, v4
	v_lshl_or_b32 v4, v6, 16, v4
	v_lshrrev_b32_e32 v6, 16, v5
	global_store_b32 v[0:1], v4, off
	global_load_b32 v4, v[12:13], off offset:656
	s_wait_loadcnt 0x0
	v_lshrrev_b32_e32 v7, 16, v4
	s_delay_alu instid0(VALU_DEP_1) | instskip(SKIP_1) | instid1(VALU_DEP_2)
	v_mul_f16_e32 v8, v6, v7
	v_mul_f16_e32 v7, v5, v7
	v_fmac_f16_e32 v8, v5, v4
	s_delay_alu instid0(VALU_DEP_2) | instskip(NEXT) | instid1(VALU_DEP_2)
	v_fma_f16 v4, v4, v6, -v7
	v_cvt_f32_f16_e32 v5, v8
	s_delay_alu instid0(VALU_DEP_2) | instskip(NEXT) | instid1(VALU_DEP_2)
	v_cvt_f32_f16_e32 v6, v4
	v_cvt_f64_f32_e32 v[4:5], v5
	s_delay_alu instid0(VALU_DEP_2) | instskip(NEXT) | instid1(VALU_DEP_2)
	v_cvt_f64_f32_e32 v[6:7], v6
	v_mul_f64_e32 v[4:5], s[8:9], v[4:5]
	s_delay_alu instid0(VALU_DEP_2) | instskip(NEXT) | instid1(VALU_DEP_2)
	v_mul_f64_e32 v[6:7], s[8:9], v[6:7]
	v_and_or_b32 v4, 0x1ff, v5, v4
	s_delay_alu instid0(VALU_DEP_2)
	v_and_or_b32 v6, 0x1ff, v7, v6
	v_lshrrev_b32_e32 v8, 8, v5
	v_bfe_u32 v10, v5, 20, 11
	v_bfe_u32 v11, v7, 20, 11
	v_cmp_ne_u32_e32 vcc_lo, 0, v4
	v_lshrrev_b32_e32 v9, 8, v7
	v_lshrrev_b32_e32 v7, 16, v7
	v_sub_nc_u32_e32 v14, 0x3f1, v10
	v_sub_nc_u32_e32 v16, 0x3f1, v11
	s_wait_alu 0xfffd
	v_cndmask_b32_e64 v4, 0, 1, vcc_lo
	v_cmp_ne_u32_e32 vcc_lo, 0, v6
	v_add_nc_u32_e32 v11, 0xfffffc10, v11
	s_delay_alu instid0(VALU_DEP_3)
	v_and_or_b32 v17, 0xffe, v8, v4
	s_wait_alu 0xfffd
	v_cndmask_b32_e64 v6, 0, 1, vcc_lo
	v_med3_i32 v4, v14, 0, 13
	v_med3_i32 v14, v16, 0, 13
	v_or_b32_e32 v16, 0x1000, v17
	s_delay_alu instid0(VALU_DEP_4) | instskip(SKIP_1) | instid1(VALU_DEP_3)
	v_and_or_b32 v6, 0xffe, v9, v6
	v_mad_co_u64_u32 v[8:9], null, s4, v85, 0
	v_lshrrev_b32_e32 v19, v4, v16
	s_delay_alu instid0(VALU_DEP_3) | instskip(NEXT) | instid1(VALU_DEP_2)
	v_or_b32_e32 v18, 0x1000, v6
	v_lshlrev_b32_e32 v21, v4, v19
	s_delay_alu instid0(VALU_DEP_2) | instskip(SKIP_1) | instid1(VALU_DEP_3)
	v_lshrrev_b32_e32 v20, v14, v18
	v_mov_b32_e32 v4, v9
	v_cmp_ne_u32_e32 vcc_lo, v21, v16
	s_delay_alu instid0(VALU_DEP_3) | instskip(SKIP_3) | instid1(VALU_DEP_3)
	v_lshlrev_b32_e32 v9, v14, v20
	v_add_nc_u32_e32 v14, 0xfffffc10, v10
	s_wait_alu 0xfffd
	v_cndmask_b32_e64 v16, 0, 1, vcc_lo
	v_cmp_ne_u32_e32 vcc_lo, v9, v18
	v_mad_co_u64_u32 v[9:10], null, s5, v85, v[4:5]
	v_lshl_or_b32 v4, v14, 12, v17
	s_delay_alu instid0(VALU_DEP_4)
	v_or_b32_e32 v10, v19, v16
	s_wait_alu 0xfffd
	v_cndmask_b32_e64 v18, 0, 1, vcc_lo
	v_cmp_gt_i32_e32 vcc_lo, 1, v14
	v_lshl_or_b32 v16, v11, 12, v6
	v_lshrrev_b32_e32 v5, 16, v5
	s_delay_alu instid0(VALU_DEP_4)
	v_or_b32_e32 v18, v20, v18
	s_wait_alu 0xfffd
	v_cndmask_b32_e32 v4, v4, v10, vcc_lo
	v_cmp_gt_i32_e32 vcc_lo, 1, v11
	s_wait_alu 0xfffd
	v_cndmask_b32_e32 v10, v16, v18, vcc_lo
	v_cmp_ne_u32_e32 vcc_lo, 0, v17
	v_and_b32_e32 v17, 7, v4
	v_lshrrev_b32_e32 v4, 2, v4
	s_delay_alu instid0(VALU_DEP_4)
	v_and_b32_e32 v18, 7, v10
	s_wait_alu 0xfffd
	v_cndmask_b32_e64 v16, 0, 1, vcc_lo
	v_cmp_ne_u32_e32 vcc_lo, 0, v6
	v_cmp_eq_u32_e64 s0, 3, v17
	v_lshrrev_b32_e32 v10, 2, v10
	v_cmp_lt_i32_e64 s1, 5, v18
	v_cmp_eq_u32_e64 s2, 3, v18
	s_wait_alu 0xfffd
	v_cndmask_b32_e64 v6, 0, 1, vcc_lo
	v_cmp_lt_i32_e32 vcc_lo, 5, v17
	v_lshl_or_b32 v16, v16, 9, 0x7c00
	s_delay_alu instid0(VALU_DEP_3)
	v_lshl_or_b32 v6, v6, 9, 0x7c00
	s_or_b32 vcc_lo, s0, vcc_lo
	s_wait_alu 0xfffe
	v_add_co_ci_u32_e32 v4, vcc_lo, 0, v4, vcc_lo
	s_or_b32 vcc_lo, s2, s1
	s_wait_alu 0xfffe
	v_add_co_ci_u32_e32 v10, vcc_lo, 0, v10, vcc_lo
	v_cmp_gt_i32_e32 vcc_lo, 31, v14
	s_wait_alu 0xfffd
	v_cndmask_b32_e32 v4, 0x7c00, v4, vcc_lo
	v_cmp_gt_i32_e32 vcc_lo, 31, v11
	s_wait_alu 0xfffd
	v_cndmask_b32_e32 v10, 0x7c00, v10, vcc_lo
	v_cmp_eq_u32_e32 vcc_lo, 0x40f, v14
	s_wait_alu 0xfffd
	v_cndmask_b32_e32 v4, v4, v16, vcc_lo
	v_cmp_eq_u32_e32 vcc_lo, 0x40f, v11
	s_wait_alu 0xfffd
	v_cndmask_b32_e32 v6, v10, v6, vcc_lo
	s_delay_alu instid0(VALU_DEP_3) | instskip(SKIP_1) | instid1(VALU_DEP_3)
	v_and_or_b32 v10, 0x8000, v5, v4
	v_lshlrev_b64_e32 v[4:5], 2, v[8:9]
	v_and_or_b32 v6, 0x8000, v7, v6
	s_delay_alu instid0(VALU_DEP_3) | instskip(NEXT) | instid1(VALU_DEP_3)
	v_and_b32_e32 v7, 0xffff, v10
	v_add_co_u32 v4, vcc_lo, v2, v4
	s_wait_alu 0xfffd
	s_delay_alu instid0(VALU_DEP_4) | instskip(NEXT) | instid1(VALU_DEP_3)
	v_add_co_ci_u32_e32 v5, vcc_lo, v3, v5, vcc_lo
	v_lshl_or_b32 v6, v6, 16, v7
	global_store_b32 v[4:5], v6, off
	global_load_b32 v6, v[12:13], off offset:740
	ds_load_2addr_b32 v[4:5], v65 offset0:185 offset1:206
	s_wait_dscnt 0x0
	v_lshrrev_b32_e32 v7, 16, v4
	s_wait_loadcnt 0x0
	v_lshrrev_b32_e32 v8, 16, v6
	s_delay_alu instid0(VALU_DEP_1) | instskip(SKIP_1) | instid1(VALU_DEP_2)
	v_mul_f16_e32 v9, v7, v8
	v_mul_f16_e32 v8, v4, v8
	v_fmac_f16_e32 v9, v4, v6
	s_delay_alu instid0(VALU_DEP_2) | instskip(NEXT) | instid1(VALU_DEP_2)
	v_fma_f16 v4, v6, v7, -v8
	v_cvt_f32_f16_e32 v6, v9
	s_delay_alu instid0(VALU_DEP_2) | instskip(NEXT) | instid1(VALU_DEP_2)
	v_cvt_f32_f16_e32 v4, v4
	v_cvt_f64_f32_e32 v[6:7], v6
	s_delay_alu instid0(VALU_DEP_2) | instskip(NEXT) | instid1(VALU_DEP_2)
	v_cvt_f64_f32_e32 v[8:9], v4
	v_mul_f64_e32 v[6:7], s[8:9], v[6:7]
	s_delay_alu instid0(VALU_DEP_2) | instskip(NEXT) | instid1(VALU_DEP_2)
	v_mul_f64_e32 v[8:9], s[8:9], v[8:9]
	v_and_or_b32 v4, 0x1ff, v7, v6
	s_delay_alu instid0(VALU_DEP_2)
	v_and_or_b32 v8, 0x1ff, v9, v8
	v_lshrrev_b32_e32 v6, 8, v7
	v_bfe_u32 v10, v7, 20, 11
	v_lshrrev_b32_e32 v11, 8, v9
	v_cmp_ne_u32_e32 vcc_lo, 0, v4
	v_bfe_u32 v14, v9, 20, 11
	v_lshrrev_b32_e32 v7, 16, v7
	v_sub_nc_u32_e32 v16, 0x3f1, v10
	v_add_nc_u32_e32 v10, 0xfffffc10, v10
	s_wait_alu 0xfffd
	v_cndmask_b32_e64 v4, 0, 1, vcc_lo
	v_cmp_ne_u32_e32 vcc_lo, 0, v8
	v_lshrrev_b32_e32 v9, 16, v9
	s_delay_alu instid0(VALU_DEP_3) | instskip(SKIP_4) | instid1(VALU_DEP_3)
	v_and_or_b32 v4, 0xffe, v6, v4
	s_wait_alu 0xfffd
	v_cndmask_b32_e64 v8, 0, 1, vcc_lo
	v_sub_nc_u32_e32 v6, 0x3f1, v14
	v_add_nc_u32_e32 v14, 0xfffffc10, v14
	v_and_or_b32 v8, 0xffe, v11, v8
	v_med3_i32 v11, v16, 0, 13
	v_or_b32_e32 v16, 0x1000, v4
	v_med3_i32 v6, v6, 0, 13
	s_delay_alu instid0(VALU_DEP_4) | instskip(NEXT) | instid1(VALU_DEP_3)
	v_or_b32_e32 v17, 0x1000, v8
	v_lshrrev_b32_e32 v18, v11, v16
	s_delay_alu instid0(VALU_DEP_2) | instskip(NEXT) | instid1(VALU_DEP_2)
	v_lshrrev_b32_e32 v19, v6, v17
	v_lshlrev_b32_e32 v11, v11, v18
	s_delay_alu instid0(VALU_DEP_2) | instskip(NEXT) | instid1(VALU_DEP_2)
	v_lshlrev_b32_e32 v6, v6, v19
	v_cmp_ne_u32_e32 vcc_lo, v11, v16
	v_lshl_or_b32 v16, v10, 12, v4
	s_wait_alu 0xfffd
	v_cndmask_b32_e64 v11, 0, 1, vcc_lo
	v_cmp_ne_u32_e32 vcc_lo, v6, v17
	v_lshl_or_b32 v17, v14, 12, v8
	s_delay_alu instid0(VALU_DEP_3) | instskip(SKIP_3) | instid1(VALU_DEP_2)
	v_or_b32_e32 v11, v18, v11
	s_wait_alu 0xfffd
	v_cndmask_b32_e64 v6, 0, 1, vcc_lo
	v_cmp_gt_i32_e32 vcc_lo, 1, v10
	v_or_b32_e32 v6, v19, v6
	s_wait_alu 0xfffd
	v_cndmask_b32_e32 v11, v16, v11, vcc_lo
	v_cmp_gt_i32_e32 vcc_lo, 1, v14
	s_delay_alu instid0(VALU_DEP_2)
	v_and_b32_e32 v16, 7, v11
	s_wait_alu 0xfffd
	v_cndmask_b32_e32 v6, v17, v6, vcc_lo
	v_cmp_ne_u32_e32 vcc_lo, 0, v4
	v_lshrrev_b32_e32 v11, 2, v11
	v_cmp_eq_u32_e64 s0, 3, v16
	s_delay_alu instid0(VALU_DEP_4)
	v_and_b32_e32 v17, 7, v6
	s_wait_alu 0xfffd
	v_cndmask_b32_e64 v4, 0, 1, vcc_lo
	v_cmp_ne_u32_e32 vcc_lo, 0, v8
	v_lshrrev_b32_e32 v6, 2, v6
	v_cmp_lt_i32_e64 s1, 5, v17
	v_cmp_eq_u32_e64 s2, 3, v17
	s_wait_alu 0xfffd
	v_cndmask_b32_e64 v8, 0, 1, vcc_lo
	v_cmp_lt_i32_e32 vcc_lo, 5, v16
	v_lshl_or_b32 v4, v4, 9, 0x7c00
	s_delay_alu instid0(VALU_DEP_3)
	v_lshl_or_b32 v8, v8, 9, 0x7c00
	s_or_b32 vcc_lo, s0, vcc_lo
	s_wait_alu 0xfffe
	v_add_co_ci_u32_e32 v11, vcc_lo, 0, v11, vcc_lo
	s_or_b32 vcc_lo, s2, s1
	s_wait_alu 0xfffe
	v_add_co_ci_u32_e32 v6, vcc_lo, 0, v6, vcc_lo
	v_cmp_gt_i32_e32 vcc_lo, 31, v10
	s_wait_alu 0xfffd
	v_cndmask_b32_e32 v11, 0x7c00, v11, vcc_lo
	v_cmp_gt_i32_e32 vcc_lo, 31, v14
	s_wait_alu 0xfffd
	v_cndmask_b32_e32 v6, 0x7c00, v6, vcc_lo
	v_cmp_eq_u32_e32 vcc_lo, 0x40f, v10
	s_wait_alu 0xfffd
	v_cndmask_b32_e32 v4, v11, v4, vcc_lo
	v_cmp_eq_u32_e32 vcc_lo, 0x40f, v14
	s_delay_alu instid0(VALU_DEP_2)
	v_and_or_b32 v4, 0x8000, v7, v4
	s_wait_alu 0xfffd
	v_cndmask_b32_e32 v6, v6, v8, vcc_lo
	v_add_co_u32 v0, vcc_lo, v0, s10
	s_wait_alu 0xfffd
	v_add_co_ci_u32_e32 v1, vcc_lo, s11, v1, vcc_lo
	s_delay_alu instid0(VALU_DEP_3) | instskip(SKIP_1) | instid1(VALU_DEP_1)
	v_and_or_b32 v6, 0x8000, v9, v6
	v_and_b32_e32 v4, 0xffff, v4
	v_lshl_or_b32 v4, v6, 16, v4
	v_lshrrev_b32_e32 v6, 16, v5
	global_store_b32 v[0:1], v4, off
	global_load_b32 v4, v[12:13], off offset:824
	s_wait_loadcnt 0x0
	v_lshrrev_b32_e32 v7, 16, v4
	s_delay_alu instid0(VALU_DEP_1) | instskip(SKIP_1) | instid1(VALU_DEP_2)
	v_mul_f16_e32 v8, v6, v7
	v_mul_f16_e32 v7, v5, v7
	v_fmac_f16_e32 v8, v5, v4
	s_delay_alu instid0(VALU_DEP_2) | instskip(NEXT) | instid1(VALU_DEP_2)
	v_fma_f16 v4, v4, v6, -v7
	v_cvt_f32_f16_e32 v5, v8
	s_delay_alu instid0(VALU_DEP_2) | instskip(NEXT) | instid1(VALU_DEP_2)
	v_cvt_f32_f16_e32 v6, v4
	v_cvt_f64_f32_e32 v[4:5], v5
	s_delay_alu instid0(VALU_DEP_2) | instskip(NEXT) | instid1(VALU_DEP_2)
	v_cvt_f64_f32_e32 v[6:7], v6
	v_mul_f64_e32 v[4:5], s[8:9], v[4:5]
	s_delay_alu instid0(VALU_DEP_2) | instskip(NEXT) | instid1(VALU_DEP_2)
	v_mul_f64_e32 v[6:7], s[8:9], v[6:7]
	v_and_or_b32 v4, 0x1ff, v5, v4
	s_delay_alu instid0(VALU_DEP_2)
	v_and_or_b32 v6, 0x1ff, v7, v6
	v_lshrrev_b32_e32 v8, 8, v5
	v_bfe_u32 v9, v5, 20, 11
	v_lshrrev_b32_e32 v10, 8, v7
	v_cmp_ne_u32_e32 vcc_lo, 0, v4
	v_bfe_u32 v11, v7, 20, 11
	v_lshrrev_b32_e32 v5, 16, v5
	v_sub_nc_u32_e32 v14, 0x3f1, v9
	v_add_nc_u32_e32 v9, 0xfffffc10, v9
	s_wait_alu 0xfffd
	v_cndmask_b32_e64 v4, 0, 1, vcc_lo
	v_cmp_ne_u32_e32 vcc_lo, 0, v6
	v_lshrrev_b32_e32 v7, 16, v7
	s_delay_alu instid0(VALU_DEP_3) | instskip(SKIP_4) | instid1(VALU_DEP_3)
	v_and_or_b32 v4, 0xffe, v8, v4
	s_wait_alu 0xfffd
	v_cndmask_b32_e64 v6, 0, 1, vcc_lo
	v_sub_nc_u32_e32 v8, 0x3f1, v11
	v_add_nc_u32_e32 v11, 0xfffffc10, v11
	v_and_or_b32 v6, 0xffe, v10, v6
	v_med3_i32 v10, v14, 0, 13
	v_or_b32_e32 v14, 0x1000, v4
	v_med3_i32 v8, v8, 0, 13
	s_delay_alu instid0(VALU_DEP_4) | instskip(NEXT) | instid1(VALU_DEP_3)
	v_or_b32_e32 v16, 0x1000, v6
	v_lshrrev_b32_e32 v17, v10, v14
	s_delay_alu instid0(VALU_DEP_2) | instskip(NEXT) | instid1(VALU_DEP_2)
	v_lshrrev_b32_e32 v18, v8, v16
	v_lshlrev_b32_e32 v10, v10, v17
	s_delay_alu instid0(VALU_DEP_2) | instskip(NEXT) | instid1(VALU_DEP_2)
	v_lshlrev_b32_e32 v8, v8, v18
	v_cmp_ne_u32_e32 vcc_lo, v10, v14
	v_lshl_or_b32 v14, v9, 12, v4
	s_wait_alu 0xfffd
	v_cndmask_b32_e64 v10, 0, 1, vcc_lo
	v_cmp_ne_u32_e32 vcc_lo, v8, v16
	v_lshl_or_b32 v16, v11, 12, v6
	s_delay_alu instid0(VALU_DEP_3) | instskip(SKIP_3) | instid1(VALU_DEP_2)
	v_or_b32_e32 v10, v17, v10
	s_wait_alu 0xfffd
	v_cndmask_b32_e64 v8, 0, 1, vcc_lo
	v_cmp_gt_i32_e32 vcc_lo, 1, v9
	v_or_b32_e32 v8, v18, v8
	s_wait_alu 0xfffd
	v_cndmask_b32_e32 v10, v14, v10, vcc_lo
	v_cmp_gt_i32_e32 vcc_lo, 1, v11
	s_delay_alu instid0(VALU_DEP_2)
	v_and_b32_e32 v14, 7, v10
	s_wait_alu 0xfffd
	v_cndmask_b32_e32 v8, v16, v8, vcc_lo
	v_cmp_ne_u32_e32 vcc_lo, 0, v4
	v_lshrrev_b32_e32 v10, 2, v10
	v_cmp_eq_u32_e64 s0, 3, v14
	s_delay_alu instid0(VALU_DEP_4)
	v_and_b32_e32 v16, 7, v8
	s_wait_alu 0xfffd
	v_cndmask_b32_e64 v4, 0, 1, vcc_lo
	v_cmp_ne_u32_e32 vcc_lo, 0, v6
	v_lshrrev_b32_e32 v8, 2, v8
	v_cmp_lt_i32_e64 s1, 5, v16
	v_cmp_eq_u32_e64 s2, 3, v16
	s_wait_alu 0xfffd
	v_cndmask_b32_e64 v6, 0, 1, vcc_lo
	v_cmp_lt_i32_e32 vcc_lo, 5, v14
	v_lshl_or_b32 v4, v4, 9, 0x7c00
	s_delay_alu instid0(VALU_DEP_3)
	v_lshl_or_b32 v6, v6, 9, 0x7c00
	s_or_b32 vcc_lo, s0, vcc_lo
	s_wait_alu 0xfffe
	v_add_co_ci_u32_e32 v10, vcc_lo, 0, v10, vcc_lo
	s_or_b32 vcc_lo, s2, s1
	s_wait_alu 0xfffe
	v_add_co_ci_u32_e32 v8, vcc_lo, 0, v8, vcc_lo
	v_cmp_gt_i32_e32 vcc_lo, 31, v9
	s_wait_alu 0xfffd
	v_cndmask_b32_e32 v10, 0x7c00, v10, vcc_lo
	v_cmp_gt_i32_e32 vcc_lo, 31, v11
	s_wait_alu 0xfffd
	v_cndmask_b32_e32 v8, 0x7c00, v8, vcc_lo
	v_cmp_eq_u32_e32 vcc_lo, 0x40f, v9
	s_wait_alu 0xfffd
	v_cndmask_b32_e32 v4, v10, v4, vcc_lo
	v_cmp_eq_u32_e32 vcc_lo, 0x40f, v11
	s_delay_alu instid0(VALU_DEP_2)
	v_and_or_b32 v4, 0x8000, v5, v4
	s_wait_alu 0xfffd
	v_cndmask_b32_e32 v6, v8, v6, vcc_lo
	v_add_co_u32 v0, vcc_lo, v0, s6
	s_wait_alu 0xfffd
	v_add_co_ci_u32_e32 v1, vcc_lo, s7, v1, vcc_lo
	s_delay_alu instid0(VALU_DEP_3) | instskip(SKIP_1) | instid1(VALU_DEP_1)
	v_and_or_b32 v5, 0x8000, v7, v6
	v_and_b32_e32 v4, 0xffff, v4
	v_lshl_or_b32 v4, v5, 16, v4
	global_store_b32 v[0:1], v4, off
	global_load_b32 v6, v[12:13], off offset:908
	ds_load_2addr_b32 v[4:5], v65 offset0:227 offset1:248
	s_wait_dscnt 0x0
	v_lshrrev_b32_e32 v7, 16, v4
	s_wait_loadcnt 0x0
	v_lshrrev_b32_e32 v8, 16, v6
	s_delay_alu instid0(VALU_DEP_1) | instskip(SKIP_1) | instid1(VALU_DEP_2)
	v_mul_f16_e32 v9, v7, v8
	v_mul_f16_e32 v8, v4, v8
	v_fmac_f16_e32 v9, v4, v6
	s_delay_alu instid0(VALU_DEP_2) | instskip(NEXT) | instid1(VALU_DEP_2)
	v_fma_f16 v4, v6, v7, -v8
	v_cvt_f32_f16_e32 v6, v9
	s_delay_alu instid0(VALU_DEP_2) | instskip(NEXT) | instid1(VALU_DEP_2)
	v_cvt_f32_f16_e32 v4, v4
	v_cvt_f64_f32_e32 v[6:7], v6
	s_delay_alu instid0(VALU_DEP_2) | instskip(NEXT) | instid1(VALU_DEP_2)
	v_cvt_f64_f32_e32 v[8:9], v4
	v_mul_f64_e32 v[6:7], s[8:9], v[6:7]
	s_delay_alu instid0(VALU_DEP_2) | instskip(NEXT) | instid1(VALU_DEP_2)
	v_mul_f64_e32 v[8:9], s[8:9], v[8:9]
	v_and_or_b32 v4, 0x1ff, v7, v6
	s_delay_alu instid0(VALU_DEP_2)
	v_and_or_b32 v8, 0x1ff, v9, v8
	v_lshrrev_b32_e32 v6, 8, v7
	v_bfe_u32 v10, v7, 20, 11
	v_lshrrev_b32_e32 v11, 8, v9
	v_cmp_ne_u32_e32 vcc_lo, 0, v4
	v_bfe_u32 v14, v9, 20, 11
	v_lshrrev_b32_e32 v7, 16, v7
	v_sub_nc_u32_e32 v16, 0x3f1, v10
	v_add_nc_u32_e32 v10, 0xfffffc10, v10
	s_wait_alu 0xfffd
	v_cndmask_b32_e64 v4, 0, 1, vcc_lo
	v_cmp_ne_u32_e32 vcc_lo, 0, v8
	v_lshrrev_b32_e32 v9, 16, v9
	s_delay_alu instid0(VALU_DEP_3) | instskip(SKIP_4) | instid1(VALU_DEP_3)
	v_and_or_b32 v4, 0xffe, v6, v4
	s_wait_alu 0xfffd
	v_cndmask_b32_e64 v8, 0, 1, vcc_lo
	v_sub_nc_u32_e32 v6, 0x3f1, v14
	v_add_nc_u32_e32 v14, 0xfffffc10, v14
	v_and_or_b32 v8, 0xffe, v11, v8
	v_med3_i32 v11, v16, 0, 13
	v_or_b32_e32 v16, 0x1000, v4
	v_med3_i32 v6, v6, 0, 13
	s_delay_alu instid0(VALU_DEP_4) | instskip(NEXT) | instid1(VALU_DEP_3)
	v_or_b32_e32 v17, 0x1000, v8
	v_lshrrev_b32_e32 v18, v11, v16
	s_delay_alu instid0(VALU_DEP_2) | instskip(NEXT) | instid1(VALU_DEP_2)
	v_lshrrev_b32_e32 v19, v6, v17
	v_lshlrev_b32_e32 v11, v11, v18
	s_delay_alu instid0(VALU_DEP_2) | instskip(NEXT) | instid1(VALU_DEP_2)
	v_lshlrev_b32_e32 v6, v6, v19
	v_cmp_ne_u32_e32 vcc_lo, v11, v16
	v_lshl_or_b32 v16, v10, 12, v4
	s_wait_alu 0xfffd
	v_cndmask_b32_e64 v11, 0, 1, vcc_lo
	v_cmp_ne_u32_e32 vcc_lo, v6, v17
	v_lshl_or_b32 v17, v14, 12, v8
	s_delay_alu instid0(VALU_DEP_3) | instskip(SKIP_3) | instid1(VALU_DEP_2)
	v_or_b32_e32 v11, v18, v11
	s_wait_alu 0xfffd
	v_cndmask_b32_e64 v6, 0, 1, vcc_lo
	v_cmp_gt_i32_e32 vcc_lo, 1, v10
	v_or_b32_e32 v6, v19, v6
	s_wait_alu 0xfffd
	v_cndmask_b32_e32 v11, v16, v11, vcc_lo
	v_cmp_gt_i32_e32 vcc_lo, 1, v14
	s_delay_alu instid0(VALU_DEP_2)
	v_and_b32_e32 v16, 7, v11
	s_wait_alu 0xfffd
	v_cndmask_b32_e32 v6, v17, v6, vcc_lo
	v_cmp_ne_u32_e32 vcc_lo, 0, v4
	v_lshrrev_b32_e32 v11, 2, v11
	v_cmp_eq_u32_e64 s0, 3, v16
	s_delay_alu instid0(VALU_DEP_4)
	v_and_b32_e32 v17, 7, v6
	s_wait_alu 0xfffd
	v_cndmask_b32_e64 v4, 0, 1, vcc_lo
	v_cmp_ne_u32_e32 vcc_lo, 0, v8
	v_lshrrev_b32_e32 v6, 2, v6
	v_cmp_lt_i32_e64 s1, 5, v17
	v_cmp_eq_u32_e64 s2, 3, v17
	s_wait_alu 0xfffd
	v_cndmask_b32_e64 v8, 0, 1, vcc_lo
	v_cmp_lt_i32_e32 vcc_lo, 5, v16
	v_lshl_or_b32 v4, v4, 9, 0x7c00
	s_delay_alu instid0(VALU_DEP_3)
	v_lshl_or_b32 v8, v8, 9, 0x7c00
	s_or_b32 vcc_lo, s0, vcc_lo
	s_wait_alu 0xfffe
	v_add_co_ci_u32_e32 v11, vcc_lo, 0, v11, vcc_lo
	s_or_b32 vcc_lo, s2, s1
	s_wait_alu 0xfffe
	v_add_co_ci_u32_e32 v6, vcc_lo, 0, v6, vcc_lo
	v_cmp_gt_i32_e32 vcc_lo, 31, v10
	s_wait_alu 0xfffd
	v_cndmask_b32_e32 v11, 0x7c00, v11, vcc_lo
	v_cmp_gt_i32_e32 vcc_lo, 31, v14
	s_wait_alu 0xfffd
	v_cndmask_b32_e32 v6, 0x7c00, v6, vcc_lo
	v_cmp_eq_u32_e32 vcc_lo, 0x40f, v10
	s_wait_alu 0xfffd
	v_cndmask_b32_e32 v4, v11, v4, vcc_lo
	v_cmp_eq_u32_e32 vcc_lo, 0x40f, v14
	s_delay_alu instid0(VALU_DEP_2)
	v_and_or_b32 v4, 0x8000, v7, v4
	s_wait_alu 0xfffd
	v_cndmask_b32_e32 v6, v6, v8, vcc_lo
	v_add_co_u32 v0, vcc_lo, v0, s6
	s_wait_alu 0xfffd
	v_add_co_ci_u32_e32 v1, vcc_lo, s7, v1, vcc_lo
	s_delay_alu instid0(VALU_DEP_3) | instskip(SKIP_1) | instid1(VALU_DEP_1)
	v_and_or_b32 v6, 0x8000, v9, v6
	v_and_b32_e32 v4, 0xffff, v4
	v_lshl_or_b32 v4, v6, 16, v4
	v_lshrrev_b32_e32 v6, 16, v5
	global_store_b32 v[0:1], v4, off
	global_load_b32 v4, v[12:13], off offset:992
	s_wait_loadcnt 0x0
	v_lshrrev_b32_e32 v7, 16, v4
	s_delay_alu instid0(VALU_DEP_1) | instskip(SKIP_1) | instid1(VALU_DEP_2)
	v_mul_f16_e32 v8, v6, v7
	v_mul_f16_e32 v7, v5, v7
	v_fmac_f16_e32 v8, v5, v4
	s_delay_alu instid0(VALU_DEP_2) | instskip(NEXT) | instid1(VALU_DEP_2)
	v_fma_f16 v4, v4, v6, -v7
	v_cvt_f32_f16_e32 v5, v8
	s_delay_alu instid0(VALU_DEP_2) | instskip(NEXT) | instid1(VALU_DEP_2)
	v_cvt_f32_f16_e32 v6, v4
	v_cvt_f64_f32_e32 v[4:5], v5
	s_delay_alu instid0(VALU_DEP_2) | instskip(NEXT) | instid1(VALU_DEP_2)
	v_cvt_f64_f32_e32 v[6:7], v6
	v_mul_f64_e32 v[4:5], s[8:9], v[4:5]
	s_delay_alu instid0(VALU_DEP_2) | instskip(NEXT) | instid1(VALU_DEP_2)
	v_mul_f64_e32 v[6:7], s[8:9], v[6:7]
	v_and_or_b32 v4, 0x1ff, v5, v4
	s_delay_alu instid0(VALU_DEP_2)
	v_and_or_b32 v6, 0x1ff, v7, v6
	v_lshrrev_b32_e32 v8, 8, v5
	v_bfe_u32 v10, v5, 20, 11
	v_bfe_u32 v11, v7, 20, 11
	v_cmp_ne_u32_e32 vcc_lo, 0, v4
	v_lshrrev_b32_e32 v9, 8, v7
	v_lshrrev_b32_e32 v7, 16, v7
	v_sub_nc_u32_e32 v14, 0x3f1, v10
	v_sub_nc_u32_e32 v16, 0x3f1, v11
	s_wait_alu 0xfffd
	v_cndmask_b32_e64 v4, 0, 1, vcc_lo
	v_cmp_ne_u32_e32 vcc_lo, 0, v6
	v_add_nc_u32_e32 v11, 0xfffffc10, v11
	s_delay_alu instid0(VALU_DEP_3)
	v_and_or_b32 v17, 0xffe, v8, v4
	s_wait_alu 0xfffd
	v_cndmask_b32_e64 v6, 0, 1, vcc_lo
	v_med3_i32 v4, v14, 0, 13
	v_med3_i32 v14, v16, 0, 13
	v_or_b32_e32 v16, 0x1000, v17
	s_delay_alu instid0(VALU_DEP_4) | instskip(SKIP_1) | instid1(VALU_DEP_3)
	v_and_or_b32 v6, 0xffe, v9, v6
	v_mad_co_u64_u32 v[8:9], null, s4, v83, 0
	v_lshrrev_b32_e32 v19, v4, v16
	s_delay_alu instid0(VALU_DEP_3) | instskip(NEXT) | instid1(VALU_DEP_2)
	v_or_b32_e32 v18, 0x1000, v6
	v_lshlrev_b32_e32 v21, v4, v19
	s_delay_alu instid0(VALU_DEP_2) | instskip(SKIP_1) | instid1(VALU_DEP_3)
	v_lshrrev_b32_e32 v20, v14, v18
	v_mov_b32_e32 v4, v9
	v_cmp_ne_u32_e32 vcc_lo, v21, v16
	s_delay_alu instid0(VALU_DEP_3) | instskip(SKIP_3) | instid1(VALU_DEP_3)
	v_lshlrev_b32_e32 v9, v14, v20
	v_add_nc_u32_e32 v14, 0xfffffc10, v10
	s_wait_alu 0xfffd
	v_cndmask_b32_e64 v16, 0, 1, vcc_lo
	v_cmp_ne_u32_e32 vcc_lo, v9, v18
	v_mad_co_u64_u32 v[9:10], null, s5, v83, v[4:5]
	v_lshl_or_b32 v4, v14, 12, v17
	s_delay_alu instid0(VALU_DEP_4)
	v_or_b32_e32 v10, v19, v16
	s_wait_alu 0xfffd
	v_cndmask_b32_e64 v18, 0, 1, vcc_lo
	v_cmp_gt_i32_e32 vcc_lo, 1, v14
	v_lshl_or_b32 v16, v11, 12, v6
	v_lshrrev_b32_e32 v5, 16, v5
	s_delay_alu instid0(VALU_DEP_4)
	v_or_b32_e32 v18, v20, v18
	s_wait_alu 0xfffd
	v_cndmask_b32_e32 v4, v4, v10, vcc_lo
	v_cmp_gt_i32_e32 vcc_lo, 1, v11
	s_wait_alu 0xfffd
	v_cndmask_b32_e32 v10, v16, v18, vcc_lo
	v_cmp_ne_u32_e32 vcc_lo, 0, v17
	v_and_b32_e32 v17, 7, v4
	v_lshrrev_b32_e32 v4, 2, v4
	s_delay_alu instid0(VALU_DEP_4)
	v_and_b32_e32 v18, 7, v10
	s_wait_alu 0xfffd
	v_cndmask_b32_e64 v16, 0, 1, vcc_lo
	v_cmp_ne_u32_e32 vcc_lo, 0, v6
	v_cmp_eq_u32_e64 s0, 3, v17
	v_lshrrev_b32_e32 v10, 2, v10
	v_cmp_lt_i32_e64 s1, 5, v18
	v_cmp_eq_u32_e64 s2, 3, v18
	s_wait_alu 0xfffd
	v_cndmask_b32_e64 v6, 0, 1, vcc_lo
	v_cmp_lt_i32_e32 vcc_lo, 5, v17
	v_lshl_or_b32 v16, v16, 9, 0x7c00
	s_delay_alu instid0(VALU_DEP_3)
	v_lshl_or_b32 v6, v6, 9, 0x7c00
	s_or_b32 vcc_lo, s0, vcc_lo
	s_wait_alu 0xfffe
	v_add_co_ci_u32_e32 v4, vcc_lo, 0, v4, vcc_lo
	s_or_b32 vcc_lo, s2, s1
	s_wait_alu 0xfffe
	v_add_co_ci_u32_e32 v10, vcc_lo, 0, v10, vcc_lo
	v_cmp_gt_i32_e32 vcc_lo, 31, v14
	s_wait_alu 0xfffd
	v_cndmask_b32_e32 v4, 0x7c00, v4, vcc_lo
	v_cmp_gt_i32_e32 vcc_lo, 31, v11
	s_wait_alu 0xfffd
	v_cndmask_b32_e32 v10, 0x7c00, v10, vcc_lo
	v_cmp_eq_u32_e32 vcc_lo, 0x40f, v14
	s_wait_alu 0xfffd
	v_cndmask_b32_e32 v4, v4, v16, vcc_lo
	v_cmp_eq_u32_e32 vcc_lo, 0x40f, v11
	s_wait_alu 0xfffd
	v_cndmask_b32_e32 v6, v10, v6, vcc_lo
	s_delay_alu instid0(VALU_DEP_3) | instskip(SKIP_1) | instid1(VALU_DEP_3)
	v_and_or_b32 v10, 0x8000, v5, v4
	v_lshlrev_b64_e32 v[4:5], 2, v[8:9]
	v_and_or_b32 v6, 0x8000, v7, v6
	s_delay_alu instid0(VALU_DEP_3) | instskip(NEXT) | instid1(VALU_DEP_3)
	v_and_b32_e32 v7, 0xffff, v10
	v_add_co_u32 v4, vcc_lo, v2, v4
	s_wait_alu 0xfffd
	s_delay_alu instid0(VALU_DEP_4) | instskip(NEXT) | instid1(VALU_DEP_3)
	v_add_co_ci_u32_e32 v5, vcc_lo, v3, v5, vcc_lo
	v_lshl_or_b32 v6, v6, 16, v7
	global_store_b32 v[4:5], v6, off
	global_load_b32 v6, v[12:13], off offset:1076
	ds_load_2addr_b32 v[4:5], v15 offset0:13 offset1:34
	s_wait_dscnt 0x0
	v_lshrrev_b32_e32 v7, 16, v4
	s_wait_loadcnt 0x0
	v_lshrrev_b32_e32 v8, 16, v6
	s_delay_alu instid0(VALU_DEP_1) | instskip(SKIP_1) | instid1(VALU_DEP_2)
	v_mul_f16_e32 v9, v7, v8
	v_mul_f16_e32 v8, v4, v8
	v_fmac_f16_e32 v9, v4, v6
	s_delay_alu instid0(VALU_DEP_2) | instskip(NEXT) | instid1(VALU_DEP_2)
	v_fma_f16 v4, v6, v7, -v8
	v_cvt_f32_f16_e32 v6, v9
	s_delay_alu instid0(VALU_DEP_2) | instskip(NEXT) | instid1(VALU_DEP_2)
	v_cvt_f32_f16_e32 v4, v4
	v_cvt_f64_f32_e32 v[6:7], v6
	s_delay_alu instid0(VALU_DEP_2) | instskip(NEXT) | instid1(VALU_DEP_2)
	v_cvt_f64_f32_e32 v[8:9], v4
	v_mul_f64_e32 v[6:7], s[8:9], v[6:7]
	s_delay_alu instid0(VALU_DEP_2) | instskip(NEXT) | instid1(VALU_DEP_2)
	v_mul_f64_e32 v[8:9], s[8:9], v[8:9]
	v_and_or_b32 v4, 0x1ff, v7, v6
	s_delay_alu instid0(VALU_DEP_2)
	v_and_or_b32 v8, 0x1ff, v9, v8
	v_lshrrev_b32_e32 v6, 8, v7
	v_bfe_u32 v10, v7, 20, 11
	v_lshrrev_b32_e32 v11, 8, v9
	v_cmp_ne_u32_e32 vcc_lo, 0, v4
	v_bfe_u32 v14, v9, 20, 11
	v_lshrrev_b32_e32 v7, 16, v7
	v_sub_nc_u32_e32 v16, 0x3f1, v10
	v_add_nc_u32_e32 v10, 0xfffffc10, v10
	s_wait_alu 0xfffd
	v_cndmask_b32_e64 v4, 0, 1, vcc_lo
	v_cmp_ne_u32_e32 vcc_lo, 0, v8
	v_lshrrev_b32_e32 v9, 16, v9
	s_delay_alu instid0(VALU_DEP_3) | instskip(SKIP_4) | instid1(VALU_DEP_3)
	v_and_or_b32 v4, 0xffe, v6, v4
	s_wait_alu 0xfffd
	v_cndmask_b32_e64 v8, 0, 1, vcc_lo
	v_sub_nc_u32_e32 v6, 0x3f1, v14
	v_add_nc_u32_e32 v14, 0xfffffc10, v14
	v_and_or_b32 v8, 0xffe, v11, v8
	v_med3_i32 v11, v16, 0, 13
	v_or_b32_e32 v16, 0x1000, v4
	v_med3_i32 v6, v6, 0, 13
	s_delay_alu instid0(VALU_DEP_4) | instskip(NEXT) | instid1(VALU_DEP_3)
	v_or_b32_e32 v17, 0x1000, v8
	v_lshrrev_b32_e32 v18, v11, v16
	s_delay_alu instid0(VALU_DEP_2) | instskip(NEXT) | instid1(VALU_DEP_2)
	v_lshrrev_b32_e32 v19, v6, v17
	v_lshlrev_b32_e32 v11, v11, v18
	s_delay_alu instid0(VALU_DEP_2) | instskip(NEXT) | instid1(VALU_DEP_2)
	v_lshlrev_b32_e32 v6, v6, v19
	v_cmp_ne_u32_e32 vcc_lo, v11, v16
	v_lshl_or_b32 v16, v10, 12, v4
	s_wait_alu 0xfffd
	v_cndmask_b32_e64 v11, 0, 1, vcc_lo
	v_cmp_ne_u32_e32 vcc_lo, v6, v17
	v_lshl_or_b32 v17, v14, 12, v8
	s_delay_alu instid0(VALU_DEP_3) | instskip(SKIP_3) | instid1(VALU_DEP_2)
	v_or_b32_e32 v11, v18, v11
	s_wait_alu 0xfffd
	v_cndmask_b32_e64 v6, 0, 1, vcc_lo
	v_cmp_gt_i32_e32 vcc_lo, 1, v10
	v_or_b32_e32 v6, v19, v6
	s_wait_alu 0xfffd
	v_cndmask_b32_e32 v11, v16, v11, vcc_lo
	v_cmp_gt_i32_e32 vcc_lo, 1, v14
	s_delay_alu instid0(VALU_DEP_2)
	v_and_b32_e32 v16, 7, v11
	s_wait_alu 0xfffd
	v_cndmask_b32_e32 v6, v17, v6, vcc_lo
	v_cmp_ne_u32_e32 vcc_lo, 0, v4
	v_lshrrev_b32_e32 v11, 2, v11
	v_cmp_eq_u32_e64 s0, 3, v16
	s_delay_alu instid0(VALU_DEP_4)
	v_and_b32_e32 v17, 7, v6
	s_wait_alu 0xfffd
	v_cndmask_b32_e64 v4, 0, 1, vcc_lo
	v_cmp_ne_u32_e32 vcc_lo, 0, v8
	v_lshrrev_b32_e32 v6, 2, v6
	v_cmp_lt_i32_e64 s1, 5, v17
	v_cmp_eq_u32_e64 s2, 3, v17
	s_wait_alu 0xfffd
	v_cndmask_b32_e64 v8, 0, 1, vcc_lo
	v_cmp_lt_i32_e32 vcc_lo, 5, v16
	v_lshl_or_b32 v4, v4, 9, 0x7c00
	s_delay_alu instid0(VALU_DEP_3)
	v_lshl_or_b32 v8, v8, 9, 0x7c00
	s_or_b32 vcc_lo, s0, vcc_lo
	s_wait_alu 0xfffe
	v_add_co_ci_u32_e32 v11, vcc_lo, 0, v11, vcc_lo
	s_or_b32 vcc_lo, s2, s1
	s_wait_alu 0xfffe
	v_add_co_ci_u32_e32 v6, vcc_lo, 0, v6, vcc_lo
	v_cmp_gt_i32_e32 vcc_lo, 31, v10
	s_wait_alu 0xfffd
	v_cndmask_b32_e32 v11, 0x7c00, v11, vcc_lo
	v_cmp_gt_i32_e32 vcc_lo, 31, v14
	s_wait_alu 0xfffd
	v_cndmask_b32_e32 v6, 0x7c00, v6, vcc_lo
	v_cmp_eq_u32_e32 vcc_lo, 0x40f, v10
	s_wait_alu 0xfffd
	v_cndmask_b32_e32 v4, v11, v4, vcc_lo
	v_cmp_eq_u32_e32 vcc_lo, 0x40f, v14
	s_delay_alu instid0(VALU_DEP_2)
	v_and_or_b32 v4, 0x8000, v7, v4
	s_wait_alu 0xfffd
	v_cndmask_b32_e32 v6, v6, v8, vcc_lo
	v_add_co_u32 v0, vcc_lo, v0, s10
	s_wait_alu 0xfffd
	v_add_co_ci_u32_e32 v1, vcc_lo, s11, v1, vcc_lo
	s_delay_alu instid0(VALU_DEP_3) | instskip(SKIP_1) | instid1(VALU_DEP_1)
	v_and_or_b32 v6, 0x8000, v9, v6
	v_and_b32_e32 v4, 0xffff, v4
	v_lshl_or_b32 v4, v6, 16, v4
	v_lshrrev_b32_e32 v6, 16, v5
	global_store_b32 v[0:1], v4, off
	global_load_b32 v4, v[12:13], off offset:1160
	s_wait_loadcnt 0x0
	v_lshrrev_b32_e32 v7, 16, v4
	s_delay_alu instid0(VALU_DEP_1) | instskip(SKIP_1) | instid1(VALU_DEP_2)
	v_mul_f16_e32 v8, v6, v7
	v_mul_f16_e32 v7, v5, v7
	v_fmac_f16_e32 v8, v5, v4
	s_delay_alu instid0(VALU_DEP_2) | instskip(NEXT) | instid1(VALU_DEP_2)
	v_fma_f16 v4, v4, v6, -v7
	v_cvt_f32_f16_e32 v5, v8
	s_delay_alu instid0(VALU_DEP_2) | instskip(NEXT) | instid1(VALU_DEP_2)
	v_cvt_f32_f16_e32 v6, v4
	v_cvt_f64_f32_e32 v[4:5], v5
	s_delay_alu instid0(VALU_DEP_2) | instskip(NEXT) | instid1(VALU_DEP_2)
	v_cvt_f64_f32_e32 v[6:7], v6
	v_mul_f64_e32 v[4:5], s[8:9], v[4:5]
	s_delay_alu instid0(VALU_DEP_2) | instskip(NEXT) | instid1(VALU_DEP_2)
	v_mul_f64_e32 v[6:7], s[8:9], v[6:7]
	v_and_or_b32 v4, 0x1ff, v5, v4
	s_delay_alu instid0(VALU_DEP_2)
	v_and_or_b32 v6, 0x1ff, v7, v6
	v_lshrrev_b32_e32 v8, 8, v5
	v_bfe_u32 v9, v5, 20, 11
	v_lshrrev_b32_e32 v10, 8, v7
	v_cmp_ne_u32_e32 vcc_lo, 0, v4
	v_bfe_u32 v11, v7, 20, 11
	v_lshrrev_b32_e32 v5, 16, v5
	v_sub_nc_u32_e32 v14, 0x3f1, v9
	v_add_nc_u32_e32 v9, 0xfffffc10, v9
	s_wait_alu 0xfffd
	v_cndmask_b32_e64 v4, 0, 1, vcc_lo
	v_cmp_ne_u32_e32 vcc_lo, 0, v6
	v_lshrrev_b32_e32 v7, 16, v7
	s_delay_alu instid0(VALU_DEP_3) | instskip(SKIP_4) | instid1(VALU_DEP_3)
	v_and_or_b32 v4, 0xffe, v8, v4
	s_wait_alu 0xfffd
	v_cndmask_b32_e64 v6, 0, 1, vcc_lo
	v_sub_nc_u32_e32 v8, 0x3f1, v11
	v_add_nc_u32_e32 v11, 0xfffffc10, v11
	v_and_or_b32 v6, 0xffe, v10, v6
	v_med3_i32 v10, v14, 0, 13
	v_or_b32_e32 v14, 0x1000, v4
	v_med3_i32 v8, v8, 0, 13
	s_delay_alu instid0(VALU_DEP_4) | instskip(NEXT) | instid1(VALU_DEP_3)
	v_or_b32_e32 v16, 0x1000, v6
	v_lshrrev_b32_e32 v17, v10, v14
	s_delay_alu instid0(VALU_DEP_2) | instskip(NEXT) | instid1(VALU_DEP_2)
	v_lshrrev_b32_e32 v18, v8, v16
	v_lshlrev_b32_e32 v10, v10, v17
	s_delay_alu instid0(VALU_DEP_2) | instskip(NEXT) | instid1(VALU_DEP_2)
	v_lshlrev_b32_e32 v8, v8, v18
	v_cmp_ne_u32_e32 vcc_lo, v10, v14
	v_lshl_or_b32 v14, v9, 12, v4
	s_wait_alu 0xfffd
	v_cndmask_b32_e64 v10, 0, 1, vcc_lo
	v_cmp_ne_u32_e32 vcc_lo, v8, v16
	v_lshl_or_b32 v16, v11, 12, v6
	s_delay_alu instid0(VALU_DEP_3) | instskip(SKIP_3) | instid1(VALU_DEP_2)
	v_or_b32_e32 v10, v17, v10
	s_wait_alu 0xfffd
	v_cndmask_b32_e64 v8, 0, 1, vcc_lo
	v_cmp_gt_i32_e32 vcc_lo, 1, v9
	v_or_b32_e32 v8, v18, v8
	s_wait_alu 0xfffd
	v_cndmask_b32_e32 v10, v14, v10, vcc_lo
	v_cmp_gt_i32_e32 vcc_lo, 1, v11
	s_delay_alu instid0(VALU_DEP_2)
	v_and_b32_e32 v14, 7, v10
	s_wait_alu 0xfffd
	v_cndmask_b32_e32 v8, v16, v8, vcc_lo
	v_cmp_ne_u32_e32 vcc_lo, 0, v4
	v_lshrrev_b32_e32 v10, 2, v10
	v_cmp_eq_u32_e64 s0, 3, v14
	s_delay_alu instid0(VALU_DEP_4)
	v_and_b32_e32 v16, 7, v8
	s_wait_alu 0xfffd
	v_cndmask_b32_e64 v4, 0, 1, vcc_lo
	v_cmp_ne_u32_e32 vcc_lo, 0, v6
	v_lshrrev_b32_e32 v8, 2, v8
	v_cmp_lt_i32_e64 s1, 5, v16
	v_cmp_eq_u32_e64 s2, 3, v16
	s_wait_alu 0xfffd
	v_cndmask_b32_e64 v6, 0, 1, vcc_lo
	v_cmp_lt_i32_e32 vcc_lo, 5, v14
	v_lshl_or_b32 v4, v4, 9, 0x7c00
	s_delay_alu instid0(VALU_DEP_3)
	v_lshl_or_b32 v6, v6, 9, 0x7c00
	s_or_b32 vcc_lo, s0, vcc_lo
	s_wait_alu 0xfffe
	v_add_co_ci_u32_e32 v10, vcc_lo, 0, v10, vcc_lo
	s_or_b32 vcc_lo, s2, s1
	s_wait_alu 0xfffe
	v_add_co_ci_u32_e32 v8, vcc_lo, 0, v8, vcc_lo
	v_cmp_gt_i32_e32 vcc_lo, 31, v9
	s_wait_alu 0xfffd
	v_cndmask_b32_e32 v10, 0x7c00, v10, vcc_lo
	v_cmp_gt_i32_e32 vcc_lo, 31, v11
	s_wait_alu 0xfffd
	v_cndmask_b32_e32 v8, 0x7c00, v8, vcc_lo
	v_cmp_eq_u32_e32 vcc_lo, 0x40f, v9
	s_wait_alu 0xfffd
	v_cndmask_b32_e32 v4, v10, v4, vcc_lo
	v_cmp_eq_u32_e32 vcc_lo, 0x40f, v11
	s_delay_alu instid0(VALU_DEP_2)
	v_and_or_b32 v4, 0x8000, v5, v4
	s_wait_alu 0xfffd
	v_cndmask_b32_e32 v6, v8, v6, vcc_lo
	v_add_co_u32 v0, vcc_lo, v0, s6
	s_wait_alu 0xfffd
	v_add_co_ci_u32_e32 v1, vcc_lo, s7, v1, vcc_lo
	s_delay_alu instid0(VALU_DEP_3) | instskip(SKIP_1) | instid1(VALU_DEP_1)
	v_and_or_b32 v5, 0x8000, v7, v6
	v_and_b32_e32 v4, 0xffff, v4
	v_lshl_or_b32 v4, v5, 16, v4
	global_store_b32 v[0:1], v4, off
	global_load_b32 v6, v[12:13], off offset:1244
	ds_load_2addr_b32 v[4:5], v15 offset0:55 offset1:76
	s_wait_dscnt 0x0
	v_lshrrev_b32_e32 v7, 16, v4
	s_wait_loadcnt 0x0
	v_lshrrev_b32_e32 v8, 16, v6
	s_delay_alu instid0(VALU_DEP_1) | instskip(SKIP_1) | instid1(VALU_DEP_2)
	v_mul_f16_e32 v9, v7, v8
	v_mul_f16_e32 v8, v4, v8
	v_fmac_f16_e32 v9, v4, v6
	s_delay_alu instid0(VALU_DEP_2) | instskip(NEXT) | instid1(VALU_DEP_2)
	v_fma_f16 v4, v6, v7, -v8
	v_cvt_f32_f16_e32 v6, v9
	s_delay_alu instid0(VALU_DEP_2) | instskip(NEXT) | instid1(VALU_DEP_2)
	v_cvt_f32_f16_e32 v4, v4
	v_cvt_f64_f32_e32 v[6:7], v6
	s_delay_alu instid0(VALU_DEP_2) | instskip(NEXT) | instid1(VALU_DEP_2)
	v_cvt_f64_f32_e32 v[8:9], v4
	v_mul_f64_e32 v[6:7], s[8:9], v[6:7]
	s_delay_alu instid0(VALU_DEP_2) | instskip(NEXT) | instid1(VALU_DEP_2)
	v_mul_f64_e32 v[8:9], s[8:9], v[8:9]
	v_and_or_b32 v4, 0x1ff, v7, v6
	s_delay_alu instid0(VALU_DEP_2)
	v_and_or_b32 v8, 0x1ff, v9, v8
	v_lshrrev_b32_e32 v6, 8, v7
	v_bfe_u32 v10, v7, 20, 11
	v_lshrrev_b32_e32 v11, 8, v9
	v_cmp_ne_u32_e32 vcc_lo, 0, v4
	v_bfe_u32 v14, v9, 20, 11
	v_lshrrev_b32_e32 v7, 16, v7
	v_sub_nc_u32_e32 v15, 0x3f1, v10
	v_add_nc_u32_e32 v10, 0xfffffc10, v10
	s_wait_alu 0xfffd
	v_cndmask_b32_e64 v4, 0, 1, vcc_lo
	v_cmp_ne_u32_e32 vcc_lo, 0, v8
	v_lshrrev_b32_e32 v9, 16, v9
	s_delay_alu instid0(VALU_DEP_3) | instskip(SKIP_4) | instid1(VALU_DEP_3)
	v_and_or_b32 v4, 0xffe, v6, v4
	s_wait_alu 0xfffd
	v_cndmask_b32_e64 v8, 0, 1, vcc_lo
	v_sub_nc_u32_e32 v6, 0x3f1, v14
	v_add_nc_u32_e32 v14, 0xfffffc10, v14
	v_and_or_b32 v8, 0xffe, v11, v8
	v_med3_i32 v11, v15, 0, 13
	v_or_b32_e32 v15, 0x1000, v4
	v_med3_i32 v6, v6, 0, 13
	s_delay_alu instid0(VALU_DEP_4) | instskip(NEXT) | instid1(VALU_DEP_3)
	v_or_b32_e32 v16, 0x1000, v8
	v_lshrrev_b32_e32 v17, v11, v15
	s_delay_alu instid0(VALU_DEP_2) | instskip(NEXT) | instid1(VALU_DEP_2)
	v_lshrrev_b32_e32 v18, v6, v16
	v_lshlrev_b32_e32 v11, v11, v17
	s_delay_alu instid0(VALU_DEP_2) | instskip(NEXT) | instid1(VALU_DEP_2)
	v_lshlrev_b32_e32 v6, v6, v18
	v_cmp_ne_u32_e32 vcc_lo, v11, v15
	v_lshl_or_b32 v15, v10, 12, v4
	s_wait_alu 0xfffd
	v_cndmask_b32_e64 v11, 0, 1, vcc_lo
	v_cmp_ne_u32_e32 vcc_lo, v6, v16
	v_lshl_or_b32 v16, v14, 12, v8
	s_delay_alu instid0(VALU_DEP_3) | instskip(SKIP_3) | instid1(VALU_DEP_2)
	v_or_b32_e32 v11, v17, v11
	s_wait_alu 0xfffd
	v_cndmask_b32_e64 v6, 0, 1, vcc_lo
	v_cmp_gt_i32_e32 vcc_lo, 1, v10
	v_or_b32_e32 v6, v18, v6
	s_wait_alu 0xfffd
	v_cndmask_b32_e32 v11, v15, v11, vcc_lo
	v_cmp_gt_i32_e32 vcc_lo, 1, v14
	s_wait_alu 0xfffd
	s_delay_alu instid0(VALU_DEP_2) | instskip(SKIP_2) | instid1(VALU_DEP_3)
	v_dual_cndmask_b32 v6, v16, v6 :: v_dual_and_b32 v15, 7, v11
	v_cmp_ne_u32_e32 vcc_lo, 0, v4
	v_lshrrev_b32_e32 v11, 2, v11
	v_cmp_eq_u32_e64 s0, 3, v15
	s_delay_alu instid0(VALU_DEP_4)
	v_and_b32_e32 v16, 7, v6
	s_wait_alu 0xfffd
	v_cndmask_b32_e64 v4, 0, 1, vcc_lo
	v_cmp_ne_u32_e32 vcc_lo, 0, v8
	v_lshrrev_b32_e32 v6, 2, v6
	v_cmp_lt_i32_e64 s1, 5, v16
	v_cmp_eq_u32_e64 s2, 3, v16
	s_wait_alu 0xfffd
	v_cndmask_b32_e64 v8, 0, 1, vcc_lo
	v_cmp_lt_i32_e32 vcc_lo, 5, v15
	v_lshl_or_b32 v4, v4, 9, 0x7c00
	s_delay_alu instid0(VALU_DEP_3)
	v_lshl_or_b32 v8, v8, 9, 0x7c00
	s_or_b32 vcc_lo, s0, vcc_lo
	s_wait_alu 0xfffe
	v_add_co_ci_u32_e32 v11, vcc_lo, 0, v11, vcc_lo
	s_or_b32 vcc_lo, s2, s1
	s_wait_alu 0xfffe
	v_add_co_ci_u32_e32 v6, vcc_lo, 0, v6, vcc_lo
	v_cmp_gt_i32_e32 vcc_lo, 31, v10
	s_wait_alu 0xfffd
	v_cndmask_b32_e32 v11, 0x7c00, v11, vcc_lo
	v_cmp_gt_i32_e32 vcc_lo, 31, v14
	s_wait_alu 0xfffd
	v_cndmask_b32_e32 v6, 0x7c00, v6, vcc_lo
	v_cmp_eq_u32_e32 vcc_lo, 0x40f, v10
	s_wait_alu 0xfffd
	v_cndmask_b32_e32 v4, v11, v4, vcc_lo
	v_cmp_eq_u32_e32 vcc_lo, 0x40f, v14
	s_delay_alu instid0(VALU_DEP_2)
	v_and_or_b32 v4, 0x8000, v7, v4
	s_wait_alu 0xfffd
	v_cndmask_b32_e32 v6, v6, v8, vcc_lo
	v_add_co_u32 v0, vcc_lo, v0, s6
	s_wait_alu 0xfffd
	v_add_co_ci_u32_e32 v1, vcc_lo, s7, v1, vcc_lo
	s_delay_alu instid0(VALU_DEP_3) | instskip(SKIP_1) | instid1(VALU_DEP_1)
	v_and_or_b32 v6, 0x8000, v9, v6
	v_and_b32_e32 v4, 0xffff, v4
	v_lshl_or_b32 v4, v6, 16, v4
	v_lshrrev_b32_e32 v6, 16, v5
	global_store_b32 v[0:1], v4, off
	global_load_b32 v4, v[12:13], off offset:1328
	s_wait_loadcnt 0x0
	v_lshrrev_b32_e32 v7, 16, v4
	s_delay_alu instid0(VALU_DEP_1) | instskip(SKIP_1) | instid1(VALU_DEP_2)
	v_mul_f16_e32 v8, v6, v7
	v_mul_f16_e32 v7, v5, v7
	v_fmac_f16_e32 v8, v5, v4
	s_delay_alu instid0(VALU_DEP_2) | instskip(NEXT) | instid1(VALU_DEP_2)
	v_fma_f16 v4, v4, v6, -v7
	v_cvt_f32_f16_e32 v5, v8
	s_delay_alu instid0(VALU_DEP_2) | instskip(NEXT) | instid1(VALU_DEP_2)
	v_cvt_f32_f16_e32 v6, v4
	v_cvt_f64_f32_e32 v[4:5], v5
	s_delay_alu instid0(VALU_DEP_2) | instskip(NEXT) | instid1(VALU_DEP_2)
	v_cvt_f64_f32_e32 v[6:7], v6
	v_mul_f64_e32 v[4:5], s[8:9], v[4:5]
	s_delay_alu instid0(VALU_DEP_2) | instskip(NEXT) | instid1(VALU_DEP_2)
	v_mul_f64_e32 v[6:7], s[8:9], v[6:7]
	v_and_or_b32 v4, 0x1ff, v5, v4
	s_delay_alu instid0(VALU_DEP_2)
	v_and_or_b32 v6, 0x1ff, v7, v6
	v_lshrrev_b32_e32 v8, 8, v5
	v_bfe_u32 v10, v5, 20, 11
	v_bfe_u32 v11, v7, 20, 11
	v_cmp_ne_u32_e32 vcc_lo, 0, v4
	v_lshrrev_b32_e32 v9, 8, v7
	v_lshrrev_b32_e32 v7, 16, v7
	v_sub_nc_u32_e32 v14, 0x3f1, v10
	v_sub_nc_u32_e32 v15, 0x3f1, v11
	s_wait_alu 0xfffd
	v_cndmask_b32_e64 v4, 0, 1, vcc_lo
	v_cmp_ne_u32_e32 vcc_lo, 0, v6
	v_add_nc_u32_e32 v11, 0xfffffc10, v11
	s_delay_alu instid0(VALU_DEP_3)
	v_and_or_b32 v16, 0xffe, v8, v4
	s_wait_alu 0xfffd
	v_cndmask_b32_e64 v6, 0, 1, vcc_lo
	v_med3_i32 v4, v14, 0, 13
	v_med3_i32 v14, v15, 0, 13
	v_or_b32_e32 v15, 0x1000, v16
	s_delay_alu instid0(VALU_DEP_4) | instskip(SKIP_1) | instid1(VALU_DEP_3)
	v_and_or_b32 v6, 0xffe, v9, v6
	v_mad_co_u64_u32 v[8:9], null, s4, v81, 0
	v_lshrrev_b32_e32 v18, v4, v15
	s_delay_alu instid0(VALU_DEP_3) | instskip(NEXT) | instid1(VALU_DEP_2)
	v_or_b32_e32 v17, 0x1000, v6
	v_lshlrev_b32_e32 v20, v4, v18
	s_delay_alu instid0(VALU_DEP_2) | instskip(SKIP_1) | instid1(VALU_DEP_3)
	v_lshrrev_b32_e32 v19, v14, v17
	v_mov_b32_e32 v4, v9
	v_cmp_ne_u32_e32 vcc_lo, v20, v15
	s_delay_alu instid0(VALU_DEP_3) | instskip(SKIP_3) | instid1(VALU_DEP_3)
	v_lshlrev_b32_e32 v9, v14, v19
	v_add_nc_u32_e32 v14, 0xfffffc10, v10
	s_wait_alu 0xfffd
	v_cndmask_b32_e64 v15, 0, 1, vcc_lo
	v_cmp_ne_u32_e32 vcc_lo, v9, v17
	v_mad_co_u64_u32 v[9:10], null, s5, v81, v[4:5]
	v_lshl_or_b32 v4, v14, 12, v16
	s_delay_alu instid0(VALU_DEP_4)
	v_or_b32_e32 v10, v18, v15
	s_wait_alu 0xfffd
	v_cndmask_b32_e64 v17, 0, 1, vcc_lo
	v_cmp_gt_i32_e32 vcc_lo, 1, v14
	v_lshl_or_b32 v15, v11, 12, v6
	v_lshrrev_b32_e32 v5, 16, v5
	s_delay_alu instid0(VALU_DEP_4)
	v_or_b32_e32 v17, v19, v17
	s_wait_alu 0xfffd
	v_cndmask_b32_e32 v4, v4, v10, vcc_lo
	v_cmp_gt_i32_e32 vcc_lo, 1, v11
	s_wait_alu 0xfffd
	v_cndmask_b32_e32 v10, v15, v17, vcc_lo
	v_cmp_ne_u32_e32 vcc_lo, 0, v16
	v_and_b32_e32 v16, 7, v4
	v_lshrrev_b32_e32 v4, 2, v4
	s_delay_alu instid0(VALU_DEP_4)
	v_and_b32_e32 v17, 7, v10
	s_wait_alu 0xfffd
	v_cndmask_b32_e64 v15, 0, 1, vcc_lo
	v_cmp_ne_u32_e32 vcc_lo, 0, v6
	v_cmp_eq_u32_e64 s0, 3, v16
	v_lshrrev_b32_e32 v10, 2, v10
	v_cmp_lt_i32_e64 s1, 5, v17
	v_cmp_eq_u32_e64 s2, 3, v17
	s_wait_alu 0xfffd
	v_cndmask_b32_e64 v6, 0, 1, vcc_lo
	v_cmp_lt_i32_e32 vcc_lo, 5, v16
	v_lshl_or_b32 v15, v15, 9, 0x7c00
	s_delay_alu instid0(VALU_DEP_3)
	v_lshl_or_b32 v6, v6, 9, 0x7c00
	s_or_b32 vcc_lo, s0, vcc_lo
	s_wait_alu 0xfffe
	v_add_co_ci_u32_e32 v4, vcc_lo, 0, v4, vcc_lo
	s_or_b32 vcc_lo, s2, s1
	s_wait_alu 0xfffe
	v_add_co_ci_u32_e32 v10, vcc_lo, 0, v10, vcc_lo
	v_cmp_gt_i32_e32 vcc_lo, 31, v14
	s_wait_alu 0xfffd
	v_cndmask_b32_e32 v4, 0x7c00, v4, vcc_lo
	v_cmp_gt_i32_e32 vcc_lo, 31, v11
	s_wait_alu 0xfffd
	v_cndmask_b32_e32 v10, 0x7c00, v10, vcc_lo
	v_cmp_eq_u32_e32 vcc_lo, 0x40f, v14
	s_wait_alu 0xfffd
	v_cndmask_b32_e32 v4, v4, v15, vcc_lo
	v_cmp_eq_u32_e32 vcc_lo, 0x40f, v11
	s_wait_alu 0xfffd
	v_cndmask_b32_e32 v6, v10, v6, vcc_lo
	s_delay_alu instid0(VALU_DEP_3) | instskip(SKIP_1) | instid1(VALU_DEP_3)
	v_and_or_b32 v10, 0x8000, v5, v4
	v_lshlrev_b64_e32 v[4:5], 2, v[8:9]
	v_and_or_b32 v6, 0x8000, v7, v6
	s_delay_alu instid0(VALU_DEP_3) | instskip(NEXT) | instid1(VALU_DEP_3)
	v_and_b32_e32 v7, 0xffff, v10
	v_add_co_u32 v2, vcc_lo, v2, v4
	s_wait_alu 0xfffd
	s_delay_alu instid0(VALU_DEP_4) | instskip(NEXT) | instid1(VALU_DEP_3)
	v_add_co_ci_u32_e32 v3, vcc_lo, v3, v5, vcc_lo
	v_lshl_or_b32 v4, v6, 16, v7
	global_store_b32 v[2:3], v4, off
	global_load_b32 v2, v[12:13], off offset:1412
	ds_load_b32 v3, v65 offset:1412
	s_wait_dscnt 0x0
	v_lshrrev_b32_e32 v4, 16, v3
	s_wait_loadcnt 0x0
	v_lshrrev_b32_e32 v5, 16, v2
	s_delay_alu instid0(VALU_DEP_1) | instskip(SKIP_1) | instid1(VALU_DEP_2)
	v_mul_f16_e32 v6, v4, v5
	v_mul_f16_e32 v5, v3, v5
	v_fmac_f16_e32 v6, v3, v2
	s_delay_alu instid0(VALU_DEP_2) | instskip(NEXT) | instid1(VALU_DEP_2)
	v_fma_f16 v2, v2, v4, -v5
	v_cvt_f32_f16_e32 v3, v6
	s_delay_alu instid0(VALU_DEP_2) | instskip(NEXT) | instid1(VALU_DEP_2)
	v_cvt_f32_f16_e32 v4, v2
	v_cvt_f64_f32_e32 v[2:3], v3
	s_delay_alu instid0(VALU_DEP_2) | instskip(NEXT) | instid1(VALU_DEP_2)
	v_cvt_f64_f32_e32 v[4:5], v4
	v_mul_f64_e32 v[2:3], s[8:9], v[2:3]
	s_delay_alu instid0(VALU_DEP_2) | instskip(NEXT) | instid1(VALU_DEP_2)
	v_mul_f64_e32 v[4:5], s[8:9], v[4:5]
	v_and_or_b32 v2, 0x1ff, v3, v2
	s_delay_alu instid0(VALU_DEP_2)
	v_and_or_b32 v4, 0x1ff, v5, v4
	v_lshrrev_b32_e32 v6, 8, v3
	v_bfe_u32 v7, v3, 20, 11
	v_lshrrev_b32_e32 v8, 8, v5
	v_cmp_ne_u32_e32 vcc_lo, 0, v2
	v_bfe_u32 v9, v5, 20, 11
	v_lshrrev_b32_e32 v3, 16, v3
	v_sub_nc_u32_e32 v10, 0x3f1, v7
	v_add_nc_u32_e32 v7, 0xfffffc10, v7
	s_wait_alu 0xfffd
	v_cndmask_b32_e64 v2, 0, 1, vcc_lo
	v_cmp_ne_u32_e32 vcc_lo, 0, v4
	v_lshrrev_b32_e32 v5, 16, v5
	s_delay_alu instid0(VALU_DEP_3) | instskip(SKIP_4) | instid1(VALU_DEP_3)
	v_and_or_b32 v2, 0xffe, v6, v2
	s_wait_alu 0xfffd
	v_cndmask_b32_e64 v4, 0, 1, vcc_lo
	v_sub_nc_u32_e32 v6, 0x3f1, v9
	v_add_nc_u32_e32 v9, 0xfffffc10, v9
	v_and_or_b32 v4, 0xffe, v8, v4
	v_med3_i32 v8, v10, 0, 13
	v_or_b32_e32 v10, 0x1000, v2
	v_med3_i32 v6, v6, 0, 13
	s_delay_alu instid0(VALU_DEP_4) | instskip(NEXT) | instid1(VALU_DEP_3)
	v_or_b32_e32 v11, 0x1000, v4
	v_lshrrev_b32_e32 v12, v8, v10
	s_delay_alu instid0(VALU_DEP_2) | instskip(NEXT) | instid1(VALU_DEP_2)
	v_lshrrev_b32_e32 v13, v6, v11
	v_lshlrev_b32_e32 v8, v8, v12
	s_delay_alu instid0(VALU_DEP_2) | instskip(NEXT) | instid1(VALU_DEP_2)
	v_lshlrev_b32_e32 v6, v6, v13
	v_cmp_ne_u32_e32 vcc_lo, v8, v10
	v_lshl_or_b32 v10, v7, 12, v2
	s_wait_alu 0xfffd
	v_cndmask_b32_e64 v8, 0, 1, vcc_lo
	v_cmp_ne_u32_e32 vcc_lo, v6, v11
	v_lshl_or_b32 v11, v9, 12, v4
	s_delay_alu instid0(VALU_DEP_3) | instskip(SKIP_3) | instid1(VALU_DEP_2)
	v_or_b32_e32 v8, v12, v8
	s_wait_alu 0xfffd
	v_cndmask_b32_e64 v6, 0, 1, vcc_lo
	v_cmp_gt_i32_e32 vcc_lo, 1, v7
	v_or_b32_e32 v6, v13, v6
	s_wait_alu 0xfffd
	v_cndmask_b32_e32 v8, v10, v8, vcc_lo
	v_cmp_gt_i32_e32 vcc_lo, 1, v9
	s_delay_alu instid0(VALU_DEP_2)
	v_and_b32_e32 v10, 7, v8
	s_wait_alu 0xfffd
	v_cndmask_b32_e32 v6, v11, v6, vcc_lo
	v_cmp_ne_u32_e32 vcc_lo, 0, v2
	v_lshrrev_b32_e32 v8, 2, v8
	v_cmp_eq_u32_e64 s0, 3, v10
	s_delay_alu instid0(VALU_DEP_4)
	v_and_b32_e32 v11, 7, v6
	s_wait_alu 0xfffd
	v_cndmask_b32_e64 v2, 0, 1, vcc_lo
	v_cmp_ne_u32_e32 vcc_lo, 0, v4
	v_lshrrev_b32_e32 v6, 2, v6
	v_cmp_lt_i32_e64 s1, 5, v11
	v_cmp_eq_u32_e64 s2, 3, v11
	s_wait_alu 0xfffd
	v_cndmask_b32_e64 v4, 0, 1, vcc_lo
	v_cmp_lt_i32_e32 vcc_lo, 5, v10
	v_lshl_or_b32 v2, v2, 9, 0x7c00
	s_delay_alu instid0(VALU_DEP_3)
	v_lshl_or_b32 v4, v4, 9, 0x7c00
	s_or_b32 vcc_lo, s0, vcc_lo
	s_wait_alu 0xfffe
	v_add_co_ci_u32_e32 v8, vcc_lo, 0, v8, vcc_lo
	s_or_b32 vcc_lo, s2, s1
	s_wait_alu 0xfffe
	v_add_co_ci_u32_e32 v6, vcc_lo, 0, v6, vcc_lo
	v_cmp_gt_i32_e32 vcc_lo, 31, v7
	s_wait_alu 0xfffd
	v_cndmask_b32_e32 v8, 0x7c00, v8, vcc_lo
	v_cmp_gt_i32_e32 vcc_lo, 31, v9
	s_wait_alu 0xfffd
	v_cndmask_b32_e32 v6, 0x7c00, v6, vcc_lo
	v_cmp_eq_u32_e32 vcc_lo, 0x40f, v7
	s_wait_alu 0xfffd
	v_cndmask_b32_e32 v2, v8, v2, vcc_lo
	v_cmp_eq_u32_e32 vcc_lo, 0x40f, v9
	s_delay_alu instid0(VALU_DEP_2)
	v_and_or_b32 v2, 0x8000, v3, v2
	s_wait_alu 0xfffd
	v_cndmask_b32_e32 v4, v6, v4, vcc_lo
	v_add_co_u32 v0, vcc_lo, v0, s10
	s_wait_alu 0xfffd
	v_add_co_ci_u32_e32 v1, vcc_lo, s11, v1, vcc_lo
	s_delay_alu instid0(VALU_DEP_3) | instskip(SKIP_1) | instid1(VALU_DEP_1)
	v_and_or_b32 v3, 0x8000, v5, v4
	v_and_b32_e32 v2, 0xffff, v2
	v_lshl_or_b32 v2, v3, 16, v2
	global_store_b32 v[0:1], v2, off
.LBB0_15:
	s_nop 0
	s_sendmsg sendmsg(MSG_DEALLOC_VGPRS)
	s_endpgm
	.section	.rodata,"a",@progbits
	.p2align	6, 0x0
	.amdhsa_kernel bluestein_single_fwd_len357_dim1_half_op_CI_CI
		.amdhsa_group_segment_fixed_size 15708
		.amdhsa_private_segment_fixed_size 104
		.amdhsa_kernarg_size 104
		.amdhsa_user_sgpr_count 2
		.amdhsa_user_sgpr_dispatch_ptr 0
		.amdhsa_user_sgpr_queue_ptr 0
		.amdhsa_user_sgpr_kernarg_segment_ptr 1
		.amdhsa_user_sgpr_dispatch_id 0
		.amdhsa_user_sgpr_private_segment_size 0
		.amdhsa_wavefront_size32 1
		.amdhsa_uses_dynamic_stack 0
		.amdhsa_enable_private_segment 1
		.amdhsa_system_sgpr_workgroup_id_x 1
		.amdhsa_system_sgpr_workgroup_id_y 0
		.amdhsa_system_sgpr_workgroup_id_z 0
		.amdhsa_system_sgpr_workgroup_info 0
		.amdhsa_system_vgpr_workitem_id 0
		.amdhsa_next_free_vgpr 256
		.amdhsa_next_free_sgpr 18
		.amdhsa_reserve_vcc 1
		.amdhsa_float_round_mode_32 0
		.amdhsa_float_round_mode_16_64 0
		.amdhsa_float_denorm_mode_32 3
		.amdhsa_float_denorm_mode_16_64 3
		.amdhsa_fp16_overflow 0
		.amdhsa_workgroup_processor_mode 1
		.amdhsa_memory_ordered 1
		.amdhsa_forward_progress 0
		.amdhsa_round_robin_scheduling 0
		.amdhsa_exception_fp_ieee_invalid_op 0
		.amdhsa_exception_fp_denorm_src 0
		.amdhsa_exception_fp_ieee_div_zero 0
		.amdhsa_exception_fp_ieee_overflow 0
		.amdhsa_exception_fp_ieee_underflow 0
		.amdhsa_exception_fp_ieee_inexact 0
		.amdhsa_exception_int_div_zero 0
	.end_amdhsa_kernel
	.text
.Lfunc_end0:
	.size	bluestein_single_fwd_len357_dim1_half_op_CI_CI, .Lfunc_end0-bluestein_single_fwd_len357_dim1_half_op_CI_CI
                                        ; -- End function
	.section	.AMDGPU.csdata,"",@progbits
; Kernel info:
; codeLenInByte = 67424
; NumSgprs: 20
; NumVgprs: 256
; ScratchSize: 104
; MemoryBound: 0
; FloatMode: 240
; IeeeMode: 1
; LDSByteSize: 15708 bytes/workgroup (compile time only)
; SGPRBlocks: 2
; VGPRBlocks: 31
; NumSGPRsForWavesPerEU: 20
; NumVGPRsForWavesPerEU: 256
; Occupancy: 5
; WaveLimiterHint : 1
; COMPUTE_PGM_RSRC2:SCRATCH_EN: 1
; COMPUTE_PGM_RSRC2:USER_SGPR: 2
; COMPUTE_PGM_RSRC2:TRAP_HANDLER: 0
; COMPUTE_PGM_RSRC2:TGID_X_EN: 1
; COMPUTE_PGM_RSRC2:TGID_Y_EN: 0
; COMPUTE_PGM_RSRC2:TGID_Z_EN: 0
; COMPUTE_PGM_RSRC2:TIDIG_COMP_CNT: 0
	.text
	.p2alignl 7, 3214868480
	.fill 96, 4, 3214868480
	.type	__hip_cuid_cb31035f73e37014,@object ; @__hip_cuid_cb31035f73e37014
	.section	.bss,"aw",@nobits
	.globl	__hip_cuid_cb31035f73e37014
__hip_cuid_cb31035f73e37014:
	.byte	0                               ; 0x0
	.size	__hip_cuid_cb31035f73e37014, 1

	.ident	"AMD clang version 19.0.0git (https://github.com/RadeonOpenCompute/llvm-project roc-6.4.0 25133 c7fe45cf4b819c5991fe208aaa96edf142730f1d)"
	.section	".note.GNU-stack","",@progbits
	.addrsig
	.addrsig_sym __hip_cuid_cb31035f73e37014
	.amdgpu_metadata
---
amdhsa.kernels:
  - .args:
      - .actual_access:  read_only
        .address_space:  global
        .offset:         0
        .size:           8
        .value_kind:     global_buffer
      - .actual_access:  read_only
        .address_space:  global
        .offset:         8
        .size:           8
        .value_kind:     global_buffer
      - .actual_access:  read_only
        .address_space:  global
        .offset:         16
        .size:           8
        .value_kind:     global_buffer
      - .actual_access:  read_only
        .address_space:  global
        .offset:         24
        .size:           8
        .value_kind:     global_buffer
      - .actual_access:  read_only
        .address_space:  global
        .offset:         32
        .size:           8
        .value_kind:     global_buffer
      - .offset:         40
        .size:           8
        .value_kind:     by_value
      - .address_space:  global
        .offset:         48
        .size:           8
        .value_kind:     global_buffer
      - .address_space:  global
        .offset:         56
        .size:           8
        .value_kind:     global_buffer
      - .address_space:  global
        .offset:         64
        .size:           8
        .value_kind:     global_buffer
      - .address_space:  global
        .offset:         72
        .size:           8
        .value_kind:     global_buffer
      - .offset:         80
        .size:           4
        .value_kind:     by_value
      - .address_space:  global
        .offset:         88
        .size:           8
        .value_kind:     global_buffer
      - .address_space:  global
        .offset:         96
        .size:           8
        .value_kind:     global_buffer
    .group_segment_fixed_size: 15708
    .kernarg_segment_align: 8
    .kernarg_segment_size: 104
    .language:       OpenCL C
    .language_version:
      - 2
      - 0
    .max_flat_workgroup_size: 187
    .name:           bluestein_single_fwd_len357_dim1_half_op_CI_CI
    .private_segment_fixed_size: 104
    .sgpr_count:     20
    .sgpr_spill_count: 0
    .symbol:         bluestein_single_fwd_len357_dim1_half_op_CI_CI.kd
    .uniform_work_group_size: 1
    .uses_dynamic_stack: false
    .vgpr_count:     256
    .vgpr_spill_count: 25
    .wavefront_size: 32
    .workgroup_processor_mode: 1
amdhsa.target:   amdgcn-amd-amdhsa--gfx1201
amdhsa.version:
  - 1
  - 2
...

	.end_amdgpu_metadata
